;; amdgpu-corpus repo=ROCm/rocFFT kind=compiled arch=gfx950 opt=O3
	.text
	.amdgcn_target "amdgcn-amd-amdhsa--gfx950"
	.amdhsa_code_object_version 6
	.protected	bluestein_single_fwd_len119_dim1_sp_op_CI_CI ; -- Begin function bluestein_single_fwd_len119_dim1_sp_op_CI_CI
	.globl	bluestein_single_fwd_len119_dim1_sp_op_CI_CI
	.p2align	8
	.type	bluestein_single_fwd_len119_dim1_sp_op_CI_CI,@function
bluestein_single_fwd_len119_dim1_sp_op_CI_CI: ; @bluestein_single_fwd_len119_dim1_sp_op_CI_CI
; %bb.0:
	s_load_dwordx4 s[8:11], s[0:1], 0x28
	v_mul_u32_u24_e32 v1, 0xf10, v0
	v_lshrrev_b32_e32 v2, 16, v1
	v_mad_u64_u32 v[4:5], s[2:3], s2, 15, v[2:3]
	v_mov_b32_e32 v5, 0
	s_waitcnt lgkmcnt(0)
	v_cmp_gt_u64_e32 vcc, s[8:9], v[4:5]
	s_and_saveexec_b64 s[2:3], vcc
	s_cbranch_execz .LBB0_15
; %bb.1:
	v_mul_lo_u16_e32 v1, 17, v2
	s_mov_b32 s2, 0x88888889
	v_sub_u16_e32 v220, v0, v1
	v_mul_hi_u32 v0, v4, s2
	s_load_dwordx2 s[8:9], s[0:1], 0x0
	s_load_dwordx2 s[12:13], s[0:1], 0x38
	v_lshrrev_b32_e32 v0, 3, v0
	v_mul_lo_u32 v0, v0, 15
	v_sub_u32_e32 v0, v4, v0
	v_mul_u32_u24_e32 v0, 0x77, v0
	v_accvgpr_write_b32 a0, v4
	v_cmp_gt_u16_e32 vcc, 7, v220
	v_lshlrev_b32_e32 v252, 3, v220
	v_accvgpr_write_b32 a1, v0
	v_lshlrev_b32_e32 v253, 3, v0
	v_or_b32_e32 v221, 56, v220
	s_and_saveexec_b64 s[2:3], vcc
	s_cbranch_execz .LBB0_3
; %bb.2:
	s_load_dwordx2 s[4:5], s[0:1], 0x18
	v_accvgpr_read_b32 v10, a0
	v_mov_b32_e32 v0, s10
	v_mov_b32_e32 v1, s11
	;; [unrolled: 1-line block ×3, first 2 shown]
	s_waitcnt lgkmcnt(0)
	s_load_dwordx4 s[4:7], s[4:5], 0x0
	v_or_b32_e32 v37, 0x70, v220
	s_waitcnt lgkmcnt(0)
	v_mad_u64_u32 v[2:3], s[10:11], s6, v10, 0
	v_mad_u64_u32 v[4:5], s[10:11], s4, v220, 0
	v_mov_b32_e32 v6, v3
	v_mov_b32_e32 v8, v5
	v_mad_u64_u32 v[6:7], s[6:7], s7, v10, v[6:7]
	v_mov_b32_e32 v3, v6
	v_mad_u64_u32 v[6:7], s[6:7], s5, v220, v[8:9]
	v_mov_b32_e32 v5, v6
	v_lshl_add_u64 v[2:3], v[2:3], 3, v[0:1]
	v_lshl_add_u64 v[4:5], v[4:5], 3, v[2:3]
	v_mad_u64_u32 v[24:25], s[6:7], s4, 56, v[4:5]
	s_mul_i32 s6, s5, 56
	s_nop 0
	v_add_u32_e32 v25, s6, v25
	v_mad_u64_u32 v[26:27], s[10:11], s4, 56, v[24:25]
	v_add_u32_e32 v27, s6, v27
	v_mad_u64_u32 v[28:29], s[10:11], s4, 56, v[26:27]
	;; [unrolled: 2-line block ×3, first 2 shown]
	global_load_dwordx2 v[0:1], v[4:5], off
	global_load_dwordx2 v[10:11], v252, s[8:9]
	global_load_dwordx2 v[8:9], v252, s[8:9] offset:56
	global_load_dwordx2 v[6:7], v252, s[8:9] offset:112
	s_nop 0
	global_load_dwordx2 v[4:5], v252, s[8:9] offset:168
	v_add_u32_e32 v31, s6, v31
	global_load_dwordx2 v[20:21], v[24:25], off
	global_load_dwordx2 v[18:19], v[26:27], off
	;; [unrolled: 1-line block ×4, first 2 shown]
	global_load_dwordx2 v[16:17], v252, s[8:9] offset:224
	global_load_dwordx2 v[22:23], v252, s[8:9] offset:280
	;; [unrolled: 1-line block ×4, first 2 shown]
	v_mad_u64_u32 v[24:25], s[10:11], s4, v221, 0
	v_mov_b32_e32 v28, v25
	v_mad_u64_u32 v[28:29], s[10:11], s5, v221, v[28:29]
	v_mov_b32_e32 v25, v28
	v_mad_u64_u32 v[28:29], s[10:11], s4, 56, v[30:31]
	v_add_u32_e32 v29, s6, v29
	global_load_dwordx2 v[30:31], v[28:29], off
	v_mad_u64_u32 v[28:29], s[10:11], s4, 56, v[28:29]
	v_lshl_add_u64 v[24:25], v[24:25], 3, v[2:3]
	v_add_u32_e32 v29, s6, v29
	global_load_dwordx2 v[38:39], v[28:29], off
	global_load_dwordx2 v[40:41], v[24:25], off
	v_mad_u64_u32 v[24:25], s[10:11], s4, 56, v[28:29]
	v_add_u32_e32 v25, s6, v25
	s_mul_i32 s7, s5, 0x70
	global_load_dwordx2 v[28:29], v[24:25], off
	v_mad_u64_u32 v[24:25], s[10:11], s4, v42, v[24:25]
	v_add_u32_e32 v25, s7, v25
	global_load_dwordx2 v[42:43], v252, s[8:9] offset:448
	global_load_dwordx2 v[44:45], v[24:25], off
	v_mad_u64_u32 v[24:25], s[10:11], s4, 56, v[24:25]
	v_add_u32_e32 v25, s6, v25
	global_load_dwordx2 v[46:47], v252, s[8:9] offset:504
	;; [unrolled: 4-line block ×3, first 2 shown]
	global_load_dwordx2 v[54:55], v[24:25], off
	global_load_dwordx2 v[56:57], v252, s[8:9] offset:616
	v_mad_u64_u32 v[24:25], s[10:11], s4, 56, v[24:25]
	v_add_u32_e32 v25, s6, v25
	global_load_dwordx2 v[58:59], v[24:25], off
	global_load_dwordx2 v[60:61], v252, s[8:9] offset:672
	v_mad_u64_u32 v[24:25], s[10:11], s4, 56, v[24:25]
	v_mad_u64_u32 v[26:27], s[10:11], s4, v37, 0
	v_add_u32_e32 v25, s6, v25
	v_mov_b32_e32 v36, v27
	global_load_dwordx2 v[62:63], v[24:25], off
	global_load_dwordx2 v[64:65], v252, s[8:9] offset:728
	v_mad_u64_u32 v[24:25], s[10:11], s4, 56, v[24:25]
	v_mad_u64_u32 v[36:37], s[10:11], s5, v37, v[36:37]
	v_add_u32_e32 v25, s6, v25
	global_load_dwordx2 v[66:67], v[24:25], off
	global_load_dwordx2 v[68:69], v252, s[8:9] offset:784
	v_mad_u64_u32 v[24:25], s[4:5], s4, 56, v[24:25]
	v_mov_b32_e32 v27, v36
	v_add_u32_e32 v25, s6, v25
	v_lshl_add_u64 v[2:3], v[26:27], 3, v[2:3]
	global_load_dwordx2 v[70:71], v[24:25], off
	global_load_dwordx2 v[72:73], v252, s[8:9] offset:840
	s_nop 0
	global_load_dwordx2 v[24:25], v[2:3], off
	global_load_dwordx2 v[26:27], v252, s[8:9] offset:896
	v_lshl_add_u32 v36, v220, 3, v253
	v_add_u32_e32 v37, v253, v252
	s_waitcnt vmcnt(32)
	v_mul_f32_e32 v2, v1, v11
	v_mul_f32_e32 v3, v0, v11
	v_fmac_f32_e32 v2, v0, v10
	v_fma_f32 v3, v1, v10, -v3
	ds_write_b64 v36, v[2:3]
	s_waitcnt vmcnt(28)
	v_mul_f32_e32 v0, v21, v9
	v_mul_f32_e32 v1, v20, v9
	s_waitcnt vmcnt(27)
	v_mul_f32_e32 v2, v19, v7
	v_mul_f32_e32 v3, v18, v7
	v_fmac_f32_e32 v0, v20, v8
	v_fma_f32 v1, v21, v8, -v1
	v_fmac_f32_e32 v2, v18, v6
	v_fma_f32 v3, v19, v6, -v3
	ds_write2_b64 v37, v[0:1], v[2:3] offset0:7 offset1:14
	s_waitcnt vmcnt(26)
	v_mul_f32_e32 v0, v15, v5
	v_mul_f32_e32 v1, v14, v5
	s_waitcnt vmcnt(24)
	v_mul_f32_e32 v2, v13, v17
	v_mul_f32_e32 v3, v12, v17
	v_fmac_f32_e32 v0, v14, v4
	v_fma_f32 v1, v15, v4, -v1
	v_fmac_f32_e32 v2, v12, v16
	v_fma_f32 v3, v13, v16, -v3
	ds_write2_b64 v37, v[0:1], v[2:3] offset0:21 offset1:28
	;; [unrolled: 11-line block ×8, first 2 shown]
.LBB0_3:
	s_or_b64 exec, exec, s[2:3]
	s_load_dwordx2 s[2:3], s[0:1], 0x20
	s_load_dwordx2 s[4:5], s[0:1], 0x8
	v_mov_b32_e32 v0, 0
	v_mov_b32_e32 v1, 0
	s_waitcnt lgkmcnt(0)
	s_barrier
	s_waitcnt lgkmcnt(0)
                                        ; implicit-def: $vgpr6
                                        ; implicit-def: $vgpr20
                                        ; implicit-def: $vgpr10
                                        ; implicit-def: $vgpr28
                                        ; implicit-def: $vgpr26
                                        ; implicit-def: $vgpr48
                                        ; implicit-def: $vgpr38
                                        ; implicit-def: $vgpr34
	s_and_saveexec_b64 s[0:1], vcc
	s_cbranch_execz .LBB0_5
; %bb.4:
	v_accvgpr_read_b32 v0, a1
	v_lshl_add_u32 v12, v0, 3, v252
	ds_read2_b64 v[0:3], v12 offset1:7
	ds_read2_b64 v[32:35], v12 offset0:14 offset1:21
	ds_read2_b64 v[24:27], v12 offset0:28 offset1:35
	;; [unrolled: 1-line block ×7, first 2 shown]
	ds_read_b64 v[48:49], v12 offset:896
.LBB0_5:
	s_or_b64 exec, exec, s[0:1]
	s_mov_b32 s6, 0xbf2c7751
	s_waitcnt lgkmcnt(0)
	v_pk_add_f32 v[50:51], v[48:49], v[2:3]
	v_pk_add_f32 v[12:13], v[2:3], v[48:49] neg_lo:[0,1] neg_hi:[0,1]
	s_mov_b32 s7, 0x3f3d2fb0
	v_mov_b32_e32 v61, v51
	v_mov_b32_e32 v51, v12
	s_mov_b32 s0, s7
	s_mov_b32 s1, s6
	v_mov_b32_e32 v60, v13
	v_pk_mul_f32 v[12:13], v[50:51], s[0:1]
	s_mov_b32 s0, 0xbf7ee86f
	v_pk_add_f32 v[76:77], v[32:33], v[38:39] neg_lo:[0,1] neg_hi:[0,1]
	v_pk_add_f32 v[54:55], v[32:33], v[38:39]
	s_mov_b32 s1, 0x3dbcf732
	v_mov_b32_e32 v44, v54
	v_mov_b32_e32 v45, v76
	s_mov_b32 s42, s1
	s_mov_b32 s43, s0
	v_accvgpr_write_b32 a4, v12
	v_pk_mul_f32 v[14:15], v[44:45], s[42:43]
	v_mov_b32_e32 v66, v77
	v_mov_b32_e32 v67, v55
	v_pk_fma_f32 v[16:17], v[60:61], s[6:7], v[12:13]
	v_accvgpr_write_b32 a5, v13
	v_pk_fma_f32 v[12:13], v[60:61], s[6:7], v[12:13] neg_lo:[0,0,1] neg_hi:[0,0,1]
	v_accvgpr_write_b32 a8, v14
	s_mov_b32 s10, 0xbf65296c
	v_pk_fma_f32 v[18:19], v[66:67], s[0:1], v[14:15]
	v_accvgpr_write_b32 a9, v15
	v_pk_fma_f32 v[14:15], v[66:67], s[0:1], v[14:15] neg_lo:[0,0,1] neg_hi:[0,0,1]
	s_mov_b32 s11, 0x3ee437d1
	v_mov_b32_e32 v12, v16
	s_mov_b32 s14, s11
	s_mov_b32 s15, s10
	v_pk_add_f32 v[12:13], v[12:13], v[0:1]
	v_mov_b32_e32 v14, v18
	v_pk_add_f32 v[12:13], v[14:15], v[12:13]
	v_pk_mul_f32 v[14:15], v[50:51], s[14:15]
	s_mov_b32 s14, 0xbf4c4adb
	s_mov_b32 s15, 0xbf1a4643
	;; [unrolled: 1-line block ×4, first 2 shown]
	v_accvgpr_write_b32 a12, v14
	v_accvgpr_write_b32 a3, v17
	v_pk_fma_f32 v[16:17], v[60:61], s[10:11], v[14:15]
	v_accvgpr_write_b32 a13, v15
	v_pk_fma_f32 v[14:15], v[60:61], s[10:11], v[14:15] neg_lo:[0,0,1] neg_hi:[0,0,1]
	v_pk_mul_f32 v[88:89], v[44:45], s[46:47]
	v_accvgpr_write_b32 a7, v19
	v_accvgpr_write_b32 a15, v17
	v_mov_b32_e32 v14, v16
	v_pk_fma_f32 v[18:19], v[66:67], s[14:15], v[88:89]
	v_pk_fma_f32 v[16:17], v[66:67], s[14:15], v[88:89] neg_lo:[0,0,1] neg_hi:[0,0,1]
	v_pk_add_f32 v[14:15], v[14:15], v[0:1]
	v_mov_b32_e32 v16, v18
	v_pk_add_f32 v[126:127], v[34:35], v[36:37] neg_lo:[0,1] neg_hi:[0,1]
	v_pk_add_f32 v[14:15], v[16:17], v[14:15]
	s_mov_b32 s24, s15
	v_pk_add_f32 v[124:125], v[36:37], v[34:35]
	v_pk_mul_f32 v[16:17], v[126:127], s[14:15] op_sel_hi:[1,0]
	v_accvgpr_write_b32 a17, v19
	v_pk_fma_f32 v[18:19], v[124:125], s[24:25], v[16:17] op_sel:[0,0,1] op_sel_hi:[1,0,0]
	v_pk_fma_f32 v[72:73], v[124:125], s[24:25], v[16:17] op_sel:[0,0,1] op_sel_hi:[1,0,0] neg_lo:[0,0,1] neg_hi:[0,0,1]
	v_mov_b32_e32 v16, v18
	v_mov_b32_e32 v17, v73
	s_mov_b32 s16, 0x3e3c28d5
	v_pk_add_f32 v[12:13], v[16:17], v[12:13]
	s_mov_b32 s22, 0xbf7ba420
	v_pk_mul_f32 v[16:17], v[126:127], s[16:17] op_sel_hi:[1,0]
	v_accvgpr_write_b32 a11, v19
	v_pk_fma_f32 v[18:19], v[124:125], s[22:23], v[16:17] op_sel:[0,0,1] op_sel_hi:[1,0,0]
	v_pk_fma_f32 v[68:69], v[124:125], s[22:23], v[16:17] op_sel:[0,0,1] op_sel_hi:[1,0,0] neg_lo:[0,0,1] neg_hi:[0,0,1]
	v_mov_b32_e32 v16, v18
	v_mov_b32_e32 v17, v69
	s_mov_b32 s16, 0xbe3c28d5
	s_mov_b32 s17, s22
	v_pk_add_f32 v[130:131], v[24:25], v[30:31] neg_lo:[0,1] neg_hi:[0,1]
	v_pk_add_f32 v[14:15], v[16:17], v[14:15]
	s_mov_b32 s23, s16
	v_pk_add_f32 v[128:129], v[30:31], v[24:25]
	v_pk_mul_f32 v[16:17], v[130:131], s[16:17] op_sel:[1,0] op_sel_hi:[0,0]
	v_mov_b32_e32 v73, v19
	v_pk_fma_f32 v[18:19], v[128:129], s[22:23], v[16:17] op_sel_hi:[1,0,1]
	v_pk_fma_f32 v[92:93], v[128:129], s[22:23], v[16:17] op_sel_hi:[1,0,1] neg_lo:[0,0,1] neg_hi:[0,0,1]
	v_mov_b32_e32 v16, v18
	v_mov_b32_e32 v17, v93
	s_mov_b32 s26, 0x3f763a35
	v_pk_add_f32 v[12:13], v[16:17], v[12:13]
	s_mov_b32 s28, 0xbe8c1d8e
	v_pk_mul_f32 v[16:17], v[126:127], s[26:27] op_sel_hi:[1,0]
	s_mov_b32 s18, 0xbf763a35
	v_pk_fma_f32 v[42:43], v[124:125], s[28:29], v[16:17] op_sel:[0,0,1] op_sel_hi:[1,0,0]
	v_pk_fma_f32 v[74:75], v[124:125], s[28:29], v[16:17] op_sel:[0,0,1] op_sel_hi:[1,0,0] neg_lo:[0,0,1] neg_hi:[0,0,1]
	s_mov_b32 s29, s18
	s_mov_b32 s27, s28
	v_pk_mul_f32 v[114:115], v[50:51], s[28:29]
	s_mov_b32 s29, s26
	v_pk_mul_f32 v[16:17], v[130:131], s[26:27] op_sel:[1,0] op_sel_hi:[0,0]
	v_accvgpr_write_b32 a21, v19
	v_pk_fma_f32 v[18:19], v[128:129], s[28:29], v[16:17] op_sel_hi:[1,0,1]
	v_pk_fma_f32 v[86:87], v[128:129], s[28:29], v[16:17] op_sel_hi:[1,0,1] neg_lo:[0,0,1] neg_hi:[0,0,1]
	s_mov_b32 s20, 0x3f06c442
	v_mov_b32_e32 v16, v18
	v_mov_b32_e32 v17, v87
	s_mov_b32 s21, 0xbf59a7d5
	v_pk_add_f32 v[134:135], v[26:27], v[28:29] neg_lo:[0,1] neg_hi:[0,1]
	v_pk_add_f32 v[14:15], v[16:17], v[14:15]
	s_mov_b32 s30, s21
	v_pk_add_f32 v[132:133], v[28:29], v[26:27]
	v_pk_mul_f32 v[16:17], v[134:135], s[20:21] op_sel:[1,0] op_sel_hi:[0,0]
	v_accvgpr_write_b32 a19, v19
	v_pk_fma_f32 v[18:19], v[132:133], s[30:31], v[16:17] op_sel_hi:[1,0,1]
	v_pk_fma_f32 v[102:103], v[132:133], s[30:31], v[16:17] op_sel_hi:[1,0,1] neg_lo:[0,0,1] neg_hi:[0,0,1]
	v_mov_b32_e32 v16, v18
	v_mov_b32_e32 v17, v103
	s_mov_b32 s40, 0x3f2c7751
	v_pk_add_f32 v[12:13], v[16:17], v[12:13]
	s_mov_b32 s36, s7
	v_pk_mul_f32 v[16:17], v[134:135], s[40:41] op_sel:[1,0] op_sel_hi:[0,0]
	v_mov_b32_e32 v87, v19
	v_pk_fma_f32 v[18:19], v[132:133], s[36:37], v[16:17] op_sel_hi:[1,0,1]
	v_pk_fma_f32 v[98:99], v[132:133], s[36:37], v[16:17] op_sel_hi:[1,0,1] neg_lo:[0,0,1] neg_hi:[0,0,1]
	v_mov_b32_e32 v16, v18
	v_mov_b32_e32 v17, v99
	v_pk_add_f32 v[150:151], v[8:9], v[22:23] neg_lo:[0,1] neg_hi:[0,1]
	v_pk_add_f32 v[14:15], v[16:17], v[14:15]
	v_pk_add_f32 v[148:149], v[22:23], v[8:9]
	v_pk_mul_f32 v[16:17], v[150:151], s[26:27] op_sel:[1,0] op_sel_hi:[0,0]
	v_accvgpr_write_b32 a23, v19
	v_pk_fma_f32 v[18:19], v[148:149], s[28:29], v[16:17] op_sel_hi:[1,0,1]
	v_pk_fma_f32 v[112:113], v[148:149], s[28:29], v[16:17] op_sel_hi:[1,0,1] neg_lo:[0,0,1] neg_hi:[0,0,1]
	s_mov_b32 s34, 0xbeb8f4ab
	v_mov_b32_e32 v16, v18
	v_mov_b32_e32 v17, v113
	s_mov_b32 s35, 0x3f6eb680
	v_pk_add_f32 v[12:13], v[16:17], v[12:13]
	s_mov_b32 s50, s35
	v_pk_mul_f32 v[16:17], v[150:151], s[34:35] op_sel:[1,0] op_sel_hi:[0,0]
	v_mov_b32_e32 v99, v19
	v_pk_fma_f32 v[18:19], v[148:149], s[50:51], v[16:17] op_sel_hi:[1,0,1]
	v_pk_fma_f32 v[106:107], v[148:149], s[50:51], v[16:17] op_sel_hi:[1,0,1] neg_lo:[0,0,1] neg_hi:[0,0,1]
	v_mov_b32_e32 v16, v18
	v_mov_b32_e32 v17, v107
	s_mov_b32 s52, 0x3f65296c
	v_pk_add_f32 v[46:47], v[10:11], v[20:21] neg_lo:[0,1] neg_hi:[0,1]
	v_pk_add_f32 v[14:15], v[16:17], v[14:15]
	s_mov_b32 s38, s11
	v_pk_add_f32 v[190:191], v[20:21], v[10:11]
	v_pk_mul_f32 v[16:17], v[46:47], s[52:53] op_sel:[1,0] op_sel_hi:[0,0]
	v_accvgpr_write_b32 a25, v19
	v_pk_fma_f32 v[18:19], v[190:191], s[38:39], v[16:17] op_sel_hi:[1,0,1]
	v_pk_fma_f32 v[122:123], v[190:191], s[38:39], v[16:17] op_sel_hi:[1,0,1] neg_lo:[0,0,1] neg_hi:[0,0,1]
	v_mov_b32_e32 v16, v18
	v_mov_b32_e32 v17, v123
	v_pk_add_f32 v[12:13], v[16:17], v[12:13]
	s_mov_b32 s44, s1
	v_pk_mul_f32 v[16:17], v[46:47], s[0:1] op_sel:[1,0] op_sel_hi:[0,0]
	v_mov_b32_e32 v107, v19
	v_pk_fma_f32 v[18:19], v[190:191], s[44:45], v[16:17] op_sel_hi:[1,0,1]
	v_pk_fma_f32 v[118:119], v[190:191], s[44:45], v[16:17] op_sel_hi:[1,0,1] neg_lo:[0,0,1] neg_hi:[0,0,1]
	s_mov_b32 s48, 0x3eb8f4ab
	v_accvgpr_write_b32 a27, v19
	v_mov_b32_e32 v16, v18
	v_mov_b32_e32 v17, v119
	v_pk_mul_f32 v[18:19], v[130:131], s[48:49] op_sel:[1,0] op_sel_hi:[0,0]
	s_mov_b32 s49, s35
	v_pk_add_f32 v[200:201], v[4:5], v[6:7] neg_lo:[0,1] neg_hi:[0,1]
	v_pk_add_f32 v[16:17], v[16:17], v[14:15]
	v_pk_add_f32 v[198:199], v[6:7], v[4:5]
	v_pk_mul_f32 v[14:15], v[200:201], s[48:49] op_sel:[1,0] op_sel_hi:[0,0]
	v_pk_fma_f32 v[144:145], v[198:199], s[50:51], v[14:15] op_sel_hi:[1,0,1]
	v_pk_fma_f32 v[146:147], v[198:199], s[50:51], v[14:15] op_sel_hi:[1,0,1] neg_lo:[0,0,1] neg_hi:[0,0,1]
	s_mov_b32 s54, 0xbf06c442
	v_mov_b32_e32 v14, v144
	v_mov_b32_e32 v15, v147
	v_pk_add_f32 v[14:15], v[14:15], v[12:13]
	v_pk_mul_f32 v[12:13], v[200:201], s[54:55] op_sel:[1,0] op_sel_hi:[0,0]
	v_pk_fma_f32 v[136:137], v[198:199], s[30:31], v[12:13] op_sel_hi:[1,0,1]
	v_pk_fma_f32 v[138:139], v[198:199], s[30:31], v[12:13] op_sel_hi:[1,0,1] neg_lo:[0,0,1] neg_hi:[0,0,1]
	v_mov_b32_e32 v12, v136
	v_mov_b32_e32 v13, v139
	v_pk_mul_f32 v[204:205], v[50:51], s[42:43]
	v_pk_add_f32 v[12:13], v[12:13], v[16:17]
	v_pk_fma_f32 v[202:203], v[60:61], s[0:1], v[204:205]
	v_pk_fma_f32 v[16:17], v[60:61], s[0:1], v[204:205] neg_lo:[0,0,1] neg_hi:[0,0,1]
	v_pk_mul_f32 v[208:209], v[44:45], s[22:23]
	v_mov_b32_e32 v16, v202
	v_pk_fma_f32 v[206:207], v[66:67], s[16:17], v[208:209]
	v_pk_fma_f32 v[40:41], v[66:67], s[16:17], v[208:209] neg_lo:[0,0,1] neg_hi:[0,0,1]
	v_pk_add_f32 v[16:17], v[16:17], v[0:1]
	v_mov_b32_e32 v40, v206
	v_pk_add_f32 v[16:17], v[40:41], v[16:17]
	v_mov_b32_e32 v40, v42
	v_mov_b32_e32 v41, v75
	s_mov_b32 s19, s28
	s_mov_b32 s42, s21
	;; [unrolled: 1-line block ×3, first 2 shown]
	v_pk_add_f32 v[16:17], v[40:41], v[16:17]
	v_pk_fma_f32 v[216:217], v[60:61], s[18:19], v[114:115]
	v_pk_fma_f32 v[40:41], v[60:61], s[18:19], v[114:115] neg_lo:[0,0,1] neg_hi:[0,0,1]
	v_pk_mul_f32 v[214:215], v[44:45], s[42:43]
	v_mov_b32_e32 v69, v43
	v_mov_b32_e32 v40, v216
	v_pk_fma_f32 v[212:213], v[66:67], s[20:21], v[214:215]
	v_pk_fma_f32 v[42:43], v[66:67], s[20:21], v[214:215] neg_lo:[0,0,1] neg_hi:[0,0,1]
	v_pk_add_f32 v[40:41], v[40:41], v[0:1]
	v_mov_b32_e32 v42, v212
	v_pk_fma_f32 v[210:211], v[128:129], s[50:51], v[18:19] op_sel_hi:[1,0,1]
	v_pk_fma_f32 v[154:155], v[128:129], s[50:51], v[18:19] op_sel_hi:[1,0,1] neg_lo:[0,0,1] neg_hi:[0,0,1]
	v_pk_add_f32 v[40:41], v[42:43], v[40:41]
	v_pk_mul_f32 v[42:43], v[126:127], s[40:41] op_sel_hi:[1,0]
	v_mov_b32_e32 v18, v210
	v_mov_b32_e32 v19, v155
	v_pk_fma_f32 v[218:219], v[124:125], s[36:37], v[42:43] op_sel:[0,0,1] op_sel_hi:[1,0,0]
	v_pk_fma_f32 v[140:141], v[124:125], s[36:37], v[42:43] op_sel:[0,0,1] op_sel_hi:[1,0,0] neg_lo:[0,0,1] neg_hi:[0,0,1]
	v_pk_add_f32 v[16:17], v[18:19], v[16:17]
	v_pk_mul_f32 v[18:19], v[130:131], s[10:11] op_sel:[1,0] op_sel_hi:[0,0]
	v_mov_b32_e32 v42, v218
	v_mov_b32_e32 v43, v141
	v_pk_fma_f32 v[52:53], v[128:129], s[38:39], v[18:19] op_sel_hi:[1,0,1]
	v_pk_fma_f32 v[142:143], v[128:129], s[38:39], v[18:19] op_sel_hi:[1,0,1] neg_lo:[0,0,1] neg_hi:[0,0,1]
	v_pk_add_f32 v[40:41], v[42:43], v[40:41]
	v_mov_b32_e32 v18, v52
	v_mov_b32_e32 v19, v143
	v_pk_add_f32 v[18:19], v[18:19], v[40:41]
	v_pk_mul_f32 v[40:41], v[134:135], s[10:11] op_sel:[1,0] op_sel_hi:[0,0]
	v_pk_fma_f32 v[156:157], v[132:133], s[38:39], v[40:41] op_sel_hi:[1,0,1]
	v_pk_fma_f32 v[162:163], v[132:133], s[38:39], v[40:41] op_sel_hi:[1,0,1] neg_lo:[0,0,1] neg_hi:[0,0,1]
	v_mov_b32_e32 v40, v156
	v_mov_b32_e32 v41, v163
	v_pk_add_f32 v[16:17], v[40:41], v[16:17]
	v_pk_mul_f32 v[40:41], v[134:135], s[16:17] op_sel:[1,0] op_sel_hi:[0,0]
	v_pk_fma_f32 v[222:223], v[132:133], s[22:23], v[40:41] op_sel_hi:[1,0,1]
	v_pk_fma_f32 v[152:153], v[132:133], s[22:23], v[40:41] op_sel_hi:[1,0,1] neg_lo:[0,0,1] neg_hi:[0,0,1]
	;; [unrolled: 6-line block ×3, first 2 shown]
	v_mov_b32_e32 v40, v164
	v_mov_b32_e32 v41, v167
	s_mov_b32 s42, 0x3f7ee86f
	v_pk_add_f32 v[16:17], v[40:41], v[16:17]
	v_pk_mul_f32 v[40:41], v[150:151], s[42:43] op_sel:[1,0] op_sel_hi:[0,0]
	v_pk_fma_f32 v[158:159], v[148:149], s[44:45], v[40:41] op_sel_hi:[1,0,1]
	v_pk_fma_f32 v[160:161], v[148:149], s[44:45], v[40:41] op_sel_hi:[1,0,1] neg_lo:[0,0,1] neg_hi:[0,0,1]
	v_mov_b32_e32 v40, v158
	v_mov_b32_e32 v41, v161
	s_mov_b32 s56, 0x3f4c4adb
	v_pk_add_f32 v[18:19], v[40:41], v[18:19]
	v_pk_mul_f32 v[40:41], v[46:47], s[56:57] op_sel:[1,0] op_sel_hi:[0,0]
	v_pk_fma_f32 v[176:177], v[190:191], s[24:25], v[40:41] op_sel_hi:[1,0,1]
	v_pk_fma_f32 v[178:179], v[190:191], s[24:25], v[40:41] op_sel_hi:[1,0,1] neg_lo:[0,0,1] neg_hi:[0,0,1]
	v_mov_b32_e32 v40, v176
	v_mov_b32_e32 v41, v179
	v_pk_add_f32 v[16:17], v[40:41], v[16:17]
	v_pk_mul_f32 v[40:41], v[46:47], s[34:35] op_sel:[1,0] op_sel_hi:[0,0]
	v_pk_fma_f32 v[168:169], v[190:191], s[50:51], v[40:41] op_sel_hi:[1,0,1]
	v_pk_fma_f32 v[170:171], v[190:191], s[50:51], v[40:41] op_sel_hi:[1,0,1] neg_lo:[0,0,1] neg_hi:[0,0,1]
	v_mov_b32_e32 v40, v168
	v_mov_b32_e32 v41, v171
	;; [unrolled: 6-line block ×4, first 2 shown]
	v_pk_mul_f32 v[232:233], v[50:51], s[46:47]
	v_pk_add_f32 v[16:17], v[16:17], v[40:41]
	v_pk_fma_f32 v[228:229], v[60:61], s[14:15], v[232:233]
	v_pk_fma_f32 v[40:41], v[60:61], s[14:15], v[232:233] neg_lo:[0,0,1] neg_hi:[0,0,1]
	v_pk_mul_f32 v[234:235], v[44:45], s[28:29]
	v_mov_b32_e32 v40, v228
	v_pk_fma_f32 v[230:231], v[66:67], s[26:27], v[234:235]
	v_pk_fma_f32 v[42:43], v[66:67], s[26:27], v[234:235] neg_lo:[0,0,1] neg_hi:[0,0,1]
	v_pk_add_f32 v[40:41], v[40:41], v[0:1]
	v_mov_b32_e32 v42, v230
	v_pk_add_f32 v[40:41], v[42:43], v[40:41]
	v_pk_mul_f32 v[42:43], v[126:127], s[34:35] op_sel_hi:[1,0]
	s_mov_b32 s46, s21
	v_pk_fma_f32 v[236:237], v[124:125], s[50:51], v[42:43] op_sel:[0,0,1] op_sel_hi:[1,0,0]
	v_pk_fma_f32 v[180:181], v[124:125], s[50:51], v[42:43] op_sel:[0,0,1] op_sel_hi:[1,0,0] neg_lo:[0,0,1] neg_hi:[0,0,1]
	v_mov_b32_e32 v42, v236
	v_mov_b32_e32 v43, v181
	v_pk_add_f32 v[40:41], v[42:43], v[40:41]
	v_pk_mul_f32 v[42:43], v[130:131], s[54:55] op_sel:[1,0] op_sel_hi:[0,0]
	v_pk_fma_f32 v[238:239], v[128:129], s[30:31], v[42:43] op_sel_hi:[1,0,1]
	v_pk_fma_f32 v[186:187], v[128:129], s[30:31], v[42:43] op_sel_hi:[1,0,1] neg_lo:[0,0,1] neg_hi:[0,0,1]
	v_mov_b32_e32 v42, v238
	v_mov_b32_e32 v43, v187
	v_pk_add_f32 v[40:41], v[42:43], v[40:41]
	v_pk_mul_f32 v[42:43], v[134:135], s[42:43] op_sel:[1,0] op_sel_hi:[0,0]
	v_pk_fma_f32 v[240:241], v[132:133], s[44:45], v[42:43] op_sel_hi:[1,0,1]
	v_pk_fma_f32 v[188:189], v[132:133], s[44:45], v[42:43] op_sel_hi:[1,0,1] neg_lo:[0,0,1] neg_hi:[0,0,1]
	;; [unrolled: 6-line block ×4, first 2 shown]
	v_mov_b32_e32 v42, v194
	v_mov_b32_e32 v43, v197
	s_mov_b32 s47, s54
	v_pk_add_f32 v[40:41], v[42:43], v[40:41]
	v_pk_mul_f32 v[254:255], v[46:47], s[54:55] op_sel:[1,0] op_sel_hi:[0,0]
	v_pk_mul_f32 v[244:245], v[126:127], s[54:55] op_sel_hi:[1,0]
	s_mov_b32 s55, s21
	v_pk_mul_f32 v[42:43], v[50:51], s[46:47]
	s_mov_b32 s46, s11
	v_pk_fma_f32 v[56:57], v[60:61], s[54:55], v[42:43] neg_lo:[1,0,0] neg_hi:[1,0,0]
	v_pk_fma_f32 v[224:225], v[60:61], s[54:55], v[42:43]
	v_pk_fma_f32 v[42:43], v[60:61], s[54:55], v[42:43] neg_lo:[0,0,1] neg_hi:[0,0,1]
	s_mov_b32 s47, s52
	v_mov_b32_e32 v57, v225
	v_mov_b32_e32 v225, v43
	v_pk_mul_f32 v[246:247], v[150:151], s[52:53] op_sel:[1,0] op_sel_hi:[0,0]
	v_pk_mul_f32 v[42:43], v[200:201], s[52:53] op_sel:[1,0] op_sel_hi:[0,0]
	s_mov_b32 s53, s11
	v_pk_mul_f32 v[226:227], v[44:45], s[46:47]
	v_pk_add_f32 v[224:225], v[224:225], v[0:1]
	v_pk_fma_f32 v[62:63], v[76:77], s[52:53], v[226:227] op_sel:[1,0,0] neg_lo:[1,0,0] neg_hi:[1,0,0]
	v_pk_fma_f32 v[248:249], v[66:67], s[52:53], v[226:227]
	v_pk_fma_f32 v[226:227], v[66:67], s[52:53], v[226:227] neg_lo:[0,0,1] neg_hi:[0,0,1]
	v_mov_b32_e32 v63, v249
	v_mov_b32_e32 v249, v227
	v_pk_mul_f32 v[226:227], v[126:127], s[0:1] op_sel_hi:[1,0]
	v_pk_add_f32 v[224:225], v[248:249], v[224:225]
	v_pk_fma_f32 v[80:81], v[124:125], s[44:45], v[226:227] op_sel:[0,0,1] op_sel_hi:[1,0,0] neg_lo:[0,0,1] neg_hi:[0,0,1]
	v_pk_fma_f32 v[226:227], v[124:125], s[44:45], v[226:227] op_sel:[0,0,1] op_sel_hi:[1,0,0]
	s_mov_b32 s46, s35
	v_mov_b32_e32 v71, v227
	v_mov_b32_e32 v227, v81
	v_pk_add_f32 v[224:225], v[226:227], v[224:225]
	v_pk_mul_f32 v[226:227], v[130:131], s[56:57] op_sel:[1,0] op_sel_hi:[0,0]
	v_pk_fma_f32 v[82:83], v[128:129], s[24:25], v[226:227] op_sel_hi:[1,0,1] neg_lo:[0,0,1] neg_hi:[0,0,1]
	v_pk_fma_f32 v[226:227], v[128:129], s[24:25], v[226:227] op_sel_hi:[1,0,1]
	s_mov_b32 s47, s48
	v_mov_b32_e32 v81, v227
	v_mov_b32_e32 v227, v83
	v_pk_add_f32 v[224:225], v[226:227], v[224:225]
	v_pk_mul_f32 v[226:227], v[134:135], s[34:35] op_sel:[1,0] op_sel_hi:[0,0]
	v_pk_fma_f32 v[84:85], v[132:133], s[50:51], v[226:227] op_sel_hi:[1,0,1] neg_lo:[0,0,1] neg_hi:[0,0,1]
	v_pk_fma_f32 v[226:227], v[132:133], s[50:51], v[226:227] op_sel_hi:[1,0,1]
	v_pk_mul_f32 v[44:45], v[44:45], s[46:47]
	v_mov_b32_e32 v83, v227
	v_mov_b32_e32 v227, v85
	v_pk_add_f32 v[224:225], v[226:227], v[224:225]
	v_pk_mul_f32 v[226:227], v[150:151], s[16:17] op_sel:[1,0] op_sel_hi:[0,0]
	v_pk_fma_f32 v[90:91], v[148:149], s[22:23], v[226:227] op_sel_hi:[1,0,1] neg_lo:[0,0,1] neg_hi:[0,0,1]
	v_pk_fma_f32 v[226:227], v[148:149], s[22:23], v[226:227] op_sel_hi:[1,0,1]
	v_pk_fma_f32 v[104:105], v[76:77], s[48:49], v[44:45] op_sel:[1,0,0] neg_lo:[1,0,0] neg_hi:[1,0,0]
	v_mov_b32_e32 v85, v227
	v_mov_b32_e32 v227, v91
	v_pk_add_f32 v[224:225], v[226:227], v[224:225]
	v_pk_mul_f32 v[226:227], v[46:47], s[40:41] op_sel:[1,0] op_sel_hi:[0,0]
	v_pk_fma_f32 v[94:95], v[190:191], s[36:37], v[226:227] op_sel_hi:[1,0,1] neg_lo:[0,0,1] neg_hi:[0,0,1]
	v_pk_fma_f32 v[226:227], v[190:191], s[36:37], v[226:227] op_sel_hi:[1,0,1]
	v_pk_fma_f32 v[108:109], v[66:67], s[48:49], v[44:45]
	v_mov_b32_e32 v91, v227
	v_mov_b32_e32 v227, v95
	v_pk_add_f32 v[248:249], v[226:227], v[224:225]
	v_pk_fma_f32 v[224:225], v[198:199], s[38:39], v[42:43] op_sel_hi:[1,0,1]
	v_pk_fma_f32 v[226:227], v[198:199], s[38:39], v[42:43] op_sel_hi:[1,0,1] neg_lo:[0,0,1] neg_hi:[0,0,1]
	v_mov_b32_e32 v42, v224
	v_mov_b32_e32 v43, v227
	v_pk_add_f32 v[42:43], v[42:43], v[40:41]
	v_pk_mul_f32 v[40:41], v[200:201], s[18:19] op_sel:[1,0] op_sel_hi:[0,0]
	v_pk_fma_f32 v[96:97], v[198:199], s[28:29], v[40:41] op_sel_hi:[1,0,1] neg_lo:[0,0,1] neg_hi:[0,0,1]
	v_pk_fma_f32 v[40:41], v[198:199], s[28:29], v[40:41] op_sel_hi:[1,0,1]
	v_mov_b32_e32 v105, v109
	v_mov_b32_e32 v95, v41
	v_mov_b32_e32 v41, v97
	v_pk_add_f32 v[40:41], v[40:41], v[248:249]
	v_pk_mul_f32 v[248:249], v[50:51], s[22:23]
	v_pk_fma_f32 v[110:111], v[124:125], s[30:31], v[244:245] op_sel:[0,0,1] op_sel_hi:[1,0,0] neg_lo:[0,0,1] neg_hi:[0,0,1]
	v_pk_fma_f32 v[250:251], v[60:61], s[16:17], v[248:249] neg_lo:[1,0,0] neg_hi:[1,0,0]
	v_pk_fma_f32 v[100:101], v[60:61], s[16:17], v[248:249]
	v_pk_fma_f32 v[244:245], v[124:125], s[30:31], v[244:245] op_sel:[0,0,1] op_sel_hi:[1,0,0]
	v_mov_b32_e32 v251, v101
	v_pk_add_f32 v[250:251], v[250:251], v[0:1]
	v_pk_fma_f32 v[78:79], v[148:149], s[38:39], v[246:247] op_sel_hi:[1,0,1] neg_lo:[0,0,1] neg_hi:[0,0,1]
	v_pk_add_f32 v[104:105], v[104:105], v[250:251]
	v_mov_b32_e32 v250, v110
	v_mov_b32_e32 v251, v245
	v_pk_add_f32 v[104:105], v[250:251], v[104:105]
	v_pk_mul_f32 v[250:251], v[130:131], s[40:41] op_sel:[1,0] op_sel_hi:[0,0]
	v_pk_fma_f32 v[58:59], v[128:129], s[36:37], v[250:251] op_sel_hi:[1,0,1] neg_lo:[0,0,1] neg_hi:[0,0,1]
	v_pk_fma_f32 v[250:251], v[128:129], s[36:37], v[250:251] op_sel_hi:[1,0,1]
	v_mov_b32_e32 v116, v58
	v_mov_b32_e32 v117, v251
	v_pk_add_f32 v[104:105], v[116:117], v[104:105]
	v_pk_mul_f32 v[116:117], v[134:135], s[14:15] op_sel:[1,0] op_sel_hi:[0,0]
	v_pk_fma_f32 v[120:121], v[132:133], s[24:25], v[116:117] op_sel_hi:[1,0,1] neg_lo:[0,0,1] neg_hi:[0,0,1]
	v_pk_fma_f32 v[116:117], v[132:133], s[24:25], v[116:117] op_sel_hi:[1,0,1]
	v_mov_b32_e32 v64, v120
	v_mov_b32_e32 v65, v117
	v_pk_fma_f32 v[246:247], v[148:149], s[38:39], v[246:247] op_sel_hi:[1,0,1]
	v_pk_add_f32 v[64:65], v[64:65], v[104:105]
	v_mov_b32_e32 v104, v78
	v_mov_b32_e32 v105, v247
	v_pk_add_f32 v[64:65], v[104:105], v[64:65]
	v_pk_fma_f32 v[104:105], v[60:61], s[16:17], v[248:249] neg_lo:[0,0,1] neg_hi:[0,0,1]
	v_pk_fma_f32 v[44:45], v[66:67], s[48:49], v[44:45] neg_lo:[0,0,1] neg_hi:[0,0,1]
	v_mov_b32_e32 v101, v105
	v_mov_b32_e32 v109, v45
	v_pk_add_f32 v[44:45], v[100:101], v[0:1]
	v_mov_b32_e32 v245, v111
	v_pk_add_f32 v[44:45], v[108:109], v[44:45]
	;; [unrolled: 2-line block ×4, first 2 shown]
	v_pk_mul_f32 v[46:47], v[46:47], s[18:19] op_sel:[1,0] op_sel_hi:[0,0]
	v_mov_b32_e32 v247, v79
	v_pk_add_f32 v[44:45], v[116:117], v[44:45]
	v_pk_fma_f32 v[58:59], v[190:191], s[28:29], v[46:47] op_sel_hi:[1,0,1] neg_lo:[0,0,1] neg_hi:[0,0,1]
	v_pk_fma_f32 v[46:47], v[190:191], s[28:29], v[46:47] op_sel_hi:[1,0,1]
	v_pk_add_f32 v[44:45], v[246:247], v[44:45]
	v_mov_b32_e32 v79, v47
	v_mov_b32_e32 v47, v59
	;; [unrolled: 1-line block ×3, first 2 shown]
	v_pk_add_f32 v[46:47], v[46:47], v[44:45]
	v_pk_mul_f32 v[44:45], v[198:199], s[44:45] op_sel_hi:[1,0]
	v_pk_add_f32 v[64:65], v[78:79], v[64:65]
	v_pk_fma_f32 v[58:59], v[200:201], s[42:43], v[44:45] op_sel:[1,0,0] op_sel_hi:[0,0,1] neg_lo:[1,0,0] neg_hi:[1,0,0]
	v_pk_fma_f32 v[78:79], v[200:201], s[42:43], v[44:45] op_sel:[1,0,0] op_sel_hi:[0,0,1]
	v_mov_b32_e32 v44, v58
	v_mov_b32_e32 v45, v79
	;; [unrolled: 1-line block ×3, first 2 shown]
	v_pk_mul_f32 v[58:59], v[76:77], s[6:7] op_sel:[1,0] op_sel_hi:[0,0]
	v_pk_fma_f32 v[76:77], v[54:55], s[36:37], v[58:59] op_sel_hi:[1,0,1]
	v_pk_fma_f32 v[244:245], v[54:55], s[36:37], v[58:59] op_sel_hi:[1,0,1] neg_lo:[0,0,1] neg_hi:[0,0,1]
	s_mov_b32 s36, s35
	s_mov_b32 s37, s34
	v_pk_mul_f32 v[250:251], v[50:51], s[36:37]
	v_mov_b32_e32 v54, v76
	v_pk_fma_f32 v[248:249], v[60:61], s[34:35], v[250:251]
	v_pk_fma_f32 v[50:51], v[60:61], s[34:35], v[250:251] neg_lo:[0,0,1] neg_hi:[0,0,1]
	v_mov_b32_e32 v55, v245
	v_mov_b32_e32 v50, v248
	v_pk_add_f32 v[50:51], v[50:51], v[0:1]
	v_pk_fma_f32 v[246:247], v[190:191], s[30:31], v[254:255] op_sel_hi:[1,0,1]
	v_pk_add_f32 v[50:51], v[54:55], v[50:51]
	v_pk_mul_f32 v[54:55], v[126:127], s[10:11] op_sel_hi:[1,0]
	v_pk_fma_f32 v[190:191], v[190:191], s[30:31], v[254:255] op_sel_hi:[1,0,1] neg_lo:[0,0,1] neg_hi:[0,0,1]
	v_pk_fma_f32 v[126:127], v[124:125], s[38:39], v[54:55] op_sel:[0,0,1] op_sel_hi:[1,0,0]
	v_pk_fma_f32 v[124:125], v[124:125], s[38:39], v[54:55] op_sel:[0,0,1] op_sel_hi:[1,0,0] neg_lo:[0,0,1] neg_hi:[0,0,1]
	v_mov_b32_e32 v54, v126
	v_mov_b32_e32 v55, v125
	v_pk_add_f32 v[50:51], v[54:55], v[50:51]
	v_pk_mul_f32 v[54:55], v[130:131], s[0:1] op_sel:[1,0] op_sel_hi:[0,0]
	v_pk_fma_f32 v[130:131], v[128:129], s[44:45], v[54:55] op_sel_hi:[1,0,1]
	v_pk_fma_f32 v[128:129], v[128:129], s[44:45], v[54:55] op_sel_hi:[1,0,1] neg_lo:[0,0,1] neg_hi:[0,0,1]
	v_mov_b32_e32 v54, v130
	v_mov_b32_e32 v55, v129
	v_pk_add_f32 v[50:51], v[54:55], v[50:51]
	v_pk_mul_f32 v[54:55], v[134:135], s[18:19] op_sel:[1,0] op_sel_hi:[0,0]
	v_pk_fma_f32 v[134:135], v[132:133], s[28:29], v[54:55] op_sel_hi:[1,0,1]
	v_pk_fma_f32 v[132:133], v[132:133], s[28:29], v[54:55] op_sel_hi:[1,0,1] neg_lo:[0,0,1] neg_hi:[0,0,1]
	;; [unrolled: 6-line block ×3, first 2 shown]
	v_mov_b32_e32 v54, v150
	v_mov_b32_e32 v55, v149
	v_pk_add_f32 v[50:51], v[54:55], v[50:51]
	v_mov_b32_e32 v54, v246
	v_mov_b32_e32 v55, v191
	v_pk_add_f32 v[50:51], v[54:55], v[50:51]
	v_pk_mul_f32 v[54:55], v[200:201], s[16:17] op_sel:[1,0] op_sel_hi:[0,0]
	v_pk_fma_f32 v[200:201], v[198:199], s[22:23], v[54:55] op_sel_hi:[1,0,1]
	v_pk_fma_f32 v[198:199], v[198:199], s[22:23], v[54:55] op_sel_hi:[1,0,1] neg_lo:[0,0,1] neg_hi:[0,0,1]
	v_mov_b32_e32 v54, v200
	v_mov_b32_e32 v55, v199
	v_pk_add_f32 v[54:55], v[54:55], v[50:51]
	v_pk_add_f32 v[50:51], v[56:57], v[0:1]
	v_mov_b32_e32 v70, v80
	v_pk_add_f32 v[50:51], v[62:63], v[50:51]
	v_mov_b32_e32 v80, v82
	;; [unrolled: 2-line block ×6, first 2 shown]
	v_pk_add_f32 v[50:51], v[90:91], v[50:51]
	v_pk_add_f32 v[44:45], v[44:45], v[64:65]
	;; [unrolled: 1-line block ×4, first 2 shown]
	v_mul_lo_u16_e32 v56, 17, v220
	s_barrier
	s_and_saveexec_b64 s[22:23], vcc
	s_cbranch_execz .LBB0_7
; %bb.6:
	v_pk_add_f32 v[2:3], v[2:3], v[0:1]
	v_pk_mul_f32 v[64:65], v[60:61], s[34:35]
	v_pk_add_f32 v[2:3], v[32:33], v[2:3]
	v_pk_add_f32 v[64:65], v[250:251], v[64:65] neg_lo:[0,1] neg_hi:[0,1]
	v_pk_add_f32 v[2:3], v[34:35], v[2:3]
	v_mov_b32_e32 v65, v249
	v_pk_add_f32 v[2:3], v[24:25], v[2:3]
	v_mov_b32_e32 v245, v77
	;; [unrolled: 2-line block ×3, first 2 shown]
	v_pk_add_f32 v[2:3], v[8:9], v[2:3]
	v_accvgpr_read_b32 v53, a13
	v_pk_add_f32 v[2:3], v[10:11], v[2:3]
	v_mov_b32_e32 v125, v127
	v_pk_add_f32 v[2:3], v[4:5], v[2:3]
	v_pk_add_f32 v[4:5], v[64:65], v[0:1]
	;; [unrolled: 1-line block ×5, first 2 shown]
	v_pk_mul_f32 v[80:81], v[60:61], s[10:11]
	v_accvgpr_read_b32 v52, a12
	v_pk_add_f32 v[2:3], v[22:23], v[2:3]
	v_pk_add_f32 v[4:5], v[124:125], v[4:5]
	v_mov_b32_e32 v129, v131
	v_pk_add_f32 v[80:81], v[52:53], v[80:81] neg_lo:[0,1] neg_hi:[0,1]
	v_accvgpr_read_b32 v53, a5
	v_pk_add_f32 v[2:3], v[28:29], v[2:3]
	v_pk_add_f32 v[4:5], v[128:129], v[4:5]
	v_mov_b32_e32 v133, v135
	v_pk_mul_f32 v[70:71], v[60:61], s[6:7]
	v_accvgpr_read_b32 v52, a4
	v_pk_add_f32 v[2:3], v[30:31], v[2:3]
	v_pk_add_f32 v[4:5], v[132:133], v[4:5]
	v_mov_b32_e32 v149, v151
	v_pk_add_f32 v[70:71], v[52:53], v[70:71] neg_lo:[0,1] neg_hi:[0,1]
	v_accvgpr_read_b32 v53, a9
	v_pk_add_f32 v[2:3], v[36:37], v[2:3]
	v_pk_add_f32 v[4:5], v[148:149], v[4:5]
	v_mov_b32_e32 v191, v247
	v_pk_mul_f32 v[78:79], v[66:67], s[0:1]
	v_pk_mul_f32 v[84:85], v[66:67], s[14:15]
	v_accvgpr_read_b32 v52, a8
	v_accvgpr_read_b32 v24, a1
	v_pk_add_f32 v[2:3], v[38:39], v[2:3]
	v_pk_add_f32 v[4:5], v[190:191], v[4:5]
	v_mov_b32_e32 v199, v201
	v_accvgpr_read_b32 v81, a15
	v_pk_add_f32 v[84:85], v[88:89], v[84:85] neg_lo:[0,1] neg_hi:[0,1]
	v_accvgpr_read_b32 v71, a3
	v_pk_add_f32 v[78:79], v[52:53], v[78:79] neg_lo:[0,1] neg_hi:[0,1]
	v_add_lshl_u32 v24, v24, v56, 3
	v_pk_add_f32 v[2:3], v[48:49], v[2:3]
	v_pk_add_f32 v[4:5], v[198:199], v[4:5]
	v_accvgpr_read_b32 v85, a17
	v_accvgpr_read_b32 v79, a7
	ds_write2_b64 v24, v[2:3], v[4:5] offset1:1
	v_pk_add_f32 v[2:3], v[70:71], v[0:1]
	v_pk_add_f32 v[4:5], v[80:81], v[0:1]
	v_mov_b32_e32 v75, v69
	v_mov_b32_e32 v69, v73
	v_pk_add_f32 v[2:3], v[78:79], v[2:3]
	v_accvgpr_read_b32 v73, a11
	v_pk_add_f32 v[4:5], v[84:85], v[4:5]
	v_pk_add_f32 v[2:3], v[72:73], v[2:3]
	v_accvgpr_read_b32 v93, a21
	v_mov_b32_e32 v103, v87
	v_pk_add_f32 v[4:5], v[68:69], v[4:5]
	v_accvgpr_read_b32 v87, a19
	v_pk_add_f32 v[2:3], v[92:93], v[2:3]
	v_mov_b32_e32 v113, v99
	v_pk_add_f32 v[4:5], v[86:87], v[4:5]
	v_accvgpr_read_b32 v99, a23
	v_pk_add_f32 v[2:3], v[102:103], v[2:3]
	v_mov_b32_e32 v123, v107
	v_pk_add_f32 v[4:5], v[98:99], v[4:5]
	v_accvgpr_read_b32 v107, a25
	v_pk_mul_f32 v[58:59], v[60:61], s[14:15]
	v_pk_mul_f32 v[82:83], v[60:61], s[18:19]
	;; [unrolled: 1-line block ×3, first 2 shown]
	v_pk_add_f32 v[2:3], v[112:113], v[2:3]
	v_pk_add_f32 v[4:5], v[106:107], v[4:5]
	v_accvgpr_read_b32 v119, a27
	v_pk_add_f32 v[58:59], v[232:233], v[58:59] neg_lo:[0,1] neg_hi:[0,1]
	v_pk_mul_f32 v[62:63], v[66:67], s[26:27]
	v_pk_add_f32 v[82:83], v[114:115], v[82:83] neg_lo:[0,1] neg_hi:[0,1]
	v_pk_mul_f32 v[90:91], v[66:67], s[16:17]
	v_pk_mul_f32 v[66:67], v[66:67], s[20:21]
	v_pk_add_f32 v[60:61], v[204:205], v[60:61] neg_lo:[0,1] neg_hi:[0,1]
	v_pk_add_f32 v[2:3], v[122:123], v[2:3]
	v_mov_b32_e32 v147, v145
	v_pk_add_f32 v[4:5], v[118:119], v[4:5]
	v_mov_b32_e32 v139, v137
	v_mov_b32_e32 v59, v229
	v_pk_add_f32 v[62:63], v[234:235], v[62:63] neg_lo:[0,1] neg_hi:[0,1]
	v_mov_b32_e32 v83, v217
	v_pk_add_f32 v[66:67], v[214:215], v[66:67] neg_lo:[0,1] neg_hi:[0,1]
	;; [unrolled: 2-line block ×3, first 2 shown]
	v_pk_add_f32 v[2:3], v[146:147], v[2:3]
	v_pk_add_f32 v[4:5], v[138:139], v[4:5]
	v_mov_b32_e32 v63, v231
	v_mov_b32_e32 v67, v213
	;; [unrolled: 1-line block ×3, first 2 shown]
	ds_write2_b64 v24, v[2:3], v[4:5] offset0:2 offset1:3
	v_pk_add_f32 v[2:3], v[60:61], v[0:1]
	v_pk_add_f32 v[4:5], v[82:83], v[0:1]
	v_pk_add_f32 v[0:1], v[58:59], v[0:1]
	v_mov_b32_e32 v181, v237
	v_mov_b32_e32 v141, v219
	v_pk_add_f32 v[2:3], v[90:91], v[2:3]
	v_pk_add_f32 v[4:5], v[66:67], v[4:5]
	v_pk_add_f32 v[0:1], v[62:63], v[0:1]
	v_mov_b32_e32 v187, v239
	v_mov_b32_e32 v155, v211
	;; [unrolled: 5-line block ×3, first 2 shown]
	v_pk_add_f32 v[2:3], v[154:155], v[2:3]
	v_mov_b32_e32 v163, v157
	v_pk_add_f32 v[4:5], v[142:143], v[4:5]
	v_pk_add_f32 v[0:1], v[186:187], v[0:1]
	v_mov_b32_e32 v193, v243
	v_pk_add_f32 v[2:3], v[162:163], v[2:3]
	v_mov_b32_e32 v167, v165
	;; [unrolled: 2-line block ×3, first 2 shown]
	v_pk_add_f32 v[0:1], v[188:189], v[0:1]
	v_pk_add_f32 v[2:3], v[166:167], v[2:3]
	v_mov_b32_e32 v179, v177
	v_pk_add_f32 v[4:5], v[160:161], v[4:5]
	v_mov_b32_e32 v171, v169
	v_pk_add_f32 v[0:1], v[192:193], v[0:1]
	v_mov_b32_e32 v197, v195
	v_pk_add_f32 v[2:3], v[178:179], v[2:3]
	v_mov_b32_e32 v185, v183
	v_pk_add_f32 v[4:5], v[170:171], v[4:5]
	v_mov_b32_e32 v175, v173
	v_pk_add_f32 v[0:1], v[196:197], v[0:1]
	v_mov_b32_e32 v227, v225
	v_pk_add_f32 v[2:3], v[184:185], v[2:3]
	v_pk_add_f32 v[4:5], v[174:175], v[4:5]
	;; [unrolled: 1-line block ×3, first 2 shown]
	ds_write2_b64 v24, v[2:3], v[4:5] offset0:4 offset1:5
	ds_write2_b64 v24, v[0:1], v[50:51] offset0:6 offset1:7
	;; [unrolled: 1-line block ×6, first 2 shown]
	ds_write_b64 v24, v[54:55] offset:128
.LBB0_7:
	s_or_b64 exec, exec, s[22:23]
	v_mul_u32_u24_e32 v0, 6, v220
	v_lshlrev_b32_e32 v20, 3, v0
	s_load_dwordx4 s[0:3], s[2:3], 0x0
	s_waitcnt lgkmcnt(0)
	s_barrier
	global_load_dwordx4 v[4:7], v20, s[4:5]
	global_load_dwordx4 v[0:3], v20, s[4:5] offset:32
	global_load_dwordx4 v[8:11], v20, s[4:5] offset:16
	v_accvgpr_read_b32 v20, a1
	v_add_lshl_u32 v209, v20, v220, 3
	ds_read2_b64 v[20:23], v209 offset1:17
	ds_read2_b64 v[24:27], v209 offset0:34 offset1:51
	ds_read2_b64 v[28:31], v209 offset0:68 offset1:85
	ds_read_b64 v[32:33], v209 offset:816
	s_mov_b32 s10, 0x3eae86e6
	s_mov_b32 s18, 0x3d64c772
	;; [unrolled: 1-line block ×12, first 2 shown]
	v_lshl_add_u32 v208, v220, 3, v253
	s_waitcnt vmcnt(2) lgkmcnt(3)
	v_pk_mul_f32 v[34:35], v[22:23], v[4:5] op_sel_hi:[1,0]
	s_waitcnt lgkmcnt(2)
	v_pk_mul_f32 v[36:37], v[24:25], v[6:7] op_sel_hi:[1,0]
	v_mov_b32_e32 v38, v7
	s_waitcnt vmcnt(1) lgkmcnt(1)
	v_pk_mul_f32 v[48:49], v[30:31], v[0:1] op_sel_hi:[1,0]
	s_waitcnt lgkmcnt(0)
	v_pk_mul_f32 v[58:59], v[32:33], v[2:3] op_sel_hi:[1,0]
	v_mov_b32_e32 v60, v3
	s_waitcnt vmcnt(0)
	v_pk_mul_f32 v[62:63], v[26:27], v[8:9] op_sel_hi:[1,0]
	v_pk_mul_f32 v[64:65], v[28:29], v[10:11] op_sel_hi:[1,0]
	v_mov_b32_e32 v66, v11
	v_pk_fma_f32 v[68:69], v[22:23], v[4:5], v[34:35] op_sel:[0,1,1] op_sel_hi:[1,1,0]
	v_pk_fma_f32 v[22:23], v[22:23], v[4:5], v[34:35] op_sel:[0,1,1] op_sel_hi:[1,1,0] neg_lo:[1,0,0] neg_hi:[1,0,0]
	v_pk_fma_f32 v[34:35], v[24:25], v[38:39], v[36:37] op_sel:[0,0,1] op_sel_hi:[1,0,0]
	v_pk_fma_f32 v[24:25], v[24:25], v[38:39], v[36:37] op_sel:[0,0,1] op_sel_hi:[1,0,0] neg_lo:[1,0,0] neg_hi:[1,0,0]
	;; [unrolled: 2-line block ×4, first 2 shown]
	v_pk_fma_f32 v[48:49], v[26:27], v[8:9], v[62:63] op_sel:[0,0,1] op_sel_hi:[1,1,0] neg_lo:[1,0,0] neg_hi:[1,0,0]
	v_pk_fma_f32 v[26:27], v[26:27], v[8:9], v[62:63] op_sel:[0,1,1] op_sel_hi:[1,1,0]
	v_pk_fma_f32 v[58:59], v[28:29], v[10:11], v[64:65] op_sel:[0,0,1] op_sel_hi:[1,1,0] neg_lo:[1,0,0] neg_hi:[1,0,0]
	v_pk_fma_f32 v[28:29], v[28:29], v[66:67], v[64:65] op_sel:[0,0,1] op_sel_hi:[1,0,0]
	v_mov_b32_e32 v69, v23
	v_mov_b32_e32 v35, v25
	v_mov_b32_e32 v37, v31
	v_mov_b32_e32 v39, v33
	v_mov_b32_e32 v27, v49
	v_mov_b32_e32 v29, v59
	v_pk_add_f32 v[22:23], v[68:69], v[38:39] neg_lo:[0,1] neg_hi:[0,1]
	v_pk_add_f32 v[24:25], v[34:35], v[36:37] neg_lo:[0,1] neg_hi:[0,1]
	v_pk_add_f32 v[30:31], v[68:69], v[38:39]
	v_pk_add_f32 v[32:33], v[34:35], v[36:37]
	;; [unrolled: 1-line block ×3, first 2 shown]
	v_pk_add_f32 v[26:27], v[28:29], v[26:27] neg_lo:[0,1] neg_hi:[0,1]
	v_pk_add_f32 v[28:29], v[24:25], v[22:23] neg_lo:[0,1] neg_hi:[0,1]
	;; [unrolled: 1-line block ×3, first 2 shown]
	v_pk_add_f32 v[38:39], v[26:27], v[24:25]
	v_mov_b32_e32 v48, v26
	v_mov_b32_e32 v49, v23
	v_mov_b32_e32 v58, v24
	v_mov_b32_e32 v59, v27
	v_mov_b32_e32 v60, v22
	v_mov_b32_e32 v61, v27
	v_mov_b32_e32 v27, v25
	v_pk_add_f32 v[24:25], v[32:33], v[30:31]
	v_mov_b32_e32 v62, v35
	v_mov_b32_e32 v63, v30
	;; [unrolled: 1-line block ×8, first 2 shown]
	v_pk_add_f32 v[32:33], v[48:49], v[58:59] neg_lo:[0,1] neg_hi:[0,1]
	v_pk_add_f32 v[26:27], v[60:61], v[26:27] neg_lo:[0,1] neg_hi:[0,1]
	v_pk_add_f32 v[22:23], v[38:39], v[22:23]
	v_pk_add_f32 v[38:39], v[62:63], v[64:65] neg_lo:[0,1] neg_hi:[0,1]
	v_pk_add_f32 v[30:31], v[30:31], v[66:67] neg_lo:[0,1] neg_hi:[0,1]
	v_pk_add_f32 v[24:25], v[34:35], v[24:25]
	v_pk_mul_f32 v[48:49], v[26:27], s[10:11]
	v_pk_mul_f32 v[32:33], v[32:33], s[20:21]
	v_pk_mul_f32 v[38:39], v[38:39], s[18:19]
	v_pk_mul_f32 v[58:59], v[30:31], s[22:23]
	v_pk_mul_f32 v[34:35], v[36:37], s[14:15] op_sel_hi:[1,0]
	v_pk_add_f32 v[20:21], v[20:21], v[24:25] op_sel:[0,1] op_sel_hi:[1,0]
	v_pk_fma_f32 v[30:31], v[30:31], s[22:23], v[38:39]
	v_mov_b32_e32 v60, v59
	v_mov_b32_e32 v61, v38
	;; [unrolled: 1-line block ×6, first 2 shown]
	v_pk_fma_f32 v[24:25], v[24:25], s[16:17], v[20:21] op_sel:[1,0,0] op_sel_hi:[0,0,1]
	v_pk_fma_f32 v[36:37], v[36:37], s[14:15], v[60:61] op_sel_hi:[1,0,1] neg_lo:[0,0,1] neg_hi:[0,0,1]
	v_pk_add_f32 v[34:35], v[58:59], v[34:35] op_sel:[0,1] op_sel_hi:[1,0] neg_lo:[1,1] neg_hi:[1,1]
	v_pk_fma_f32 v[26:27], v[26:27], s[10:11], v[32:33]
	v_pk_fma_f32 v[38:39], v[28:29], s[4:5], v[38:39] op_sel_hi:[1,0,1] neg_lo:[0,0,1] neg_hi:[0,0,1]
	v_pk_fma_f32 v[28:29], v[28:29], s[4:5], v[48:49] op_sel_hi:[1,0,1] neg_lo:[1,0,1] neg_hi:[1,0,1]
	v_pk_add_f32 v[30:31], v[30:31], v[24:25]
	v_pk_add_f32 v[32:33], v[36:37], v[24:25] op_sel:[1,0] op_sel_hi:[0,1]
	v_pk_add_f32 v[24:25], v[34:35], v[24:25]
	v_pk_fma_f32 v[26:27], v[22:23], s[6:7], v[26:27] op_sel_hi:[1,0,1]
	v_pk_fma_f32 v[34:35], v[22:23], s[6:7], v[38:39] op_sel_hi:[1,0,1]
	;; [unrolled: 1-line block ×3, first 2 shown]
	v_pk_add_f32 v[38:39], v[30:31], v[26:27]
	v_pk_add_f32 v[48:49], v[30:31], v[26:27] neg_lo:[0,1] neg_hi:[0,1]
	v_pk_add_f32 v[58:59], v[32:33], v[34:35]
	v_pk_add_f32 v[26:27], v[32:33], v[34:35] neg_lo:[0,1] neg_hi:[0,1]
	v_pk_add_f32 v[32:33], v[24:25], v[36:37] neg_lo:[0,1] neg_hi:[0,1]
	v_pk_add_f32 v[24:25], v[24:25], v[36:37]
	v_mov_b32_e32 v22, v38
	v_mov_b32_e32 v23, v49
	;; [unrolled: 1-line block ×9, first 2 shown]
	ds_write2_b64 v208, v[20:21], v[22:23] offset1:17
	ds_write2_b64 v208, v[24:25], v[26:27] offset0:34 offset1:51
	ds_write2_b64 v208, v[28:29], v[30:31] offset0:68 offset1:85
	ds_write_b64 v208, v[48:49] offset:816
	s_waitcnt lgkmcnt(0)
	s_barrier
	s_and_saveexec_b64 s[4:5], vcc
	s_cbranch_execz .LBB0_9
; %bb.8:
	global_load_dwordx2 v[78:79], v252, s[8:9] offset:952
	s_add_u32 s6, s8, 0x3b8
	s_addc_u32 s7, s9, 0
	global_load_dwordx2 v[80:81], v252, s[6:7] offset:56
	global_load_dwordx2 v[82:83], v252, s[6:7] offset:112
	;; [unrolled: 1-line block ×15, first 2 shown]
	ds_read2_b64 v[32:35], v208 offset1:7
	ds_read2_b64 v[36:39], v208 offset0:14 offset1:21
	global_load_dwordx2 v[110:111], v252, s[6:7] offset:896
	ds_read2_b64 v[58:61], v208 offset0:28 offset1:35
	ds_read2_b64 v[62:65], v208 offset0:42 offset1:49
	;; [unrolled: 1-line block ×5, first 2 shown]
	s_waitcnt vmcnt(13) lgkmcnt(5)
	v_mul_f32_e32 v53, v39, v85
	s_waitcnt vmcnt(12) lgkmcnt(4)
	v_mul_f32_e32 v57, v59, v87
	s_waitcnt vmcnt(11)
	v_mul_f32_e32 v114, v61, v89
	s_waitcnt vmcnt(10) lgkmcnt(3)
	v_mul_f32_e32 v115, v63, v91
	s_waitcnt vmcnt(9)
	;; [unrolled: 4-line block ×4, first 2 shown]
	v_mul_f32_e32 v120, v73, v101
	v_mul_f32_e32 v52, v33, v79
	;; [unrolled: 1-line block ×3, first 2 shown]
	v_fma_f32 v112, v32, v78, -v52
	v_fmac_f32_e32 v113, v33, v78
	v_mul_f32_e32 v32, v35, v81
	v_mul_f32_e32 v33, v34, v81
	;; [unrolled: 1-line block ×13, first 2 shown]
	v_fma_f32 v32, v34, v80, -v32
	v_fmac_f32_e32 v33, v35, v80
	v_fma_f32 v78, v36, v82, -v52
	v_fmac_f32_e32 v79, v37, v82
	;; [unrolled: 2-line block ×11, first 2 shown]
	ds_write2_b64 v208, v[112:113], v[32:33] offset1:7
	ds_write2_b64 v208, v[78:79], v[80:81] offset0:14 offset1:21
	ds_write2_b64 v208, v[82:83], v[84:85] offset0:28 offset1:35
	;; [unrolled: 1-line block ×5, first 2 shown]
	ds_read2_b64 v[32:35], v208 offset0:98 offset1:105
	s_waitcnt vmcnt(4) lgkmcnt(7)
	v_mul_f32_e32 v101, v75, v103
	v_mul_f32_e32 v99, v74, v103
	s_waitcnt vmcnt(3)
	v_mul_f32_e32 v103, v77, v105
	v_mul_f32_e32 v37, v76, v105
	v_fma_f32 v98, v74, v102, -v101
	v_fmac_f32_e32 v99, v75, v102
	v_fma_f32 v36, v76, v104, -v103
	v_fmac_f32_e32 v37, v77, v104
	ds_write2_b64 v208, v[98:99], v[36:37] offset0:84 offset1:91
	s_waitcnt vmcnt(2) lgkmcnt(1)
	v_mul_f32_e32 v36, v33, v107
	v_mul_f32_e32 v37, v32, v107
	v_fma_f32 v36, v32, v106, -v36
	v_fmac_f32_e32 v37, v33, v106
	ds_read_b64 v[32:33], v208 offset:896
	s_waitcnt vmcnt(1)
	v_mul_f32_e32 v38, v35, v109
	v_mul_f32_e32 v39, v34, v109
	v_fma_f32 v38, v34, v108, -v38
	v_fmac_f32_e32 v39, v35, v108
	s_waitcnt vmcnt(0) lgkmcnt(0)
	v_mul_f32_e32 v34, v33, v111
	v_mul_f32_e32 v35, v32, v111
	v_fma_f32 v34, v32, v110, -v34
	v_fmac_f32_e32 v35, v33, v110
	ds_write2_b64 v208, v[36:37], v[38:39] offset0:98 offset1:105
	ds_write_b64 v208, v[34:35] offset:896
.LBB0_9:
	s_or_b64 exec, exec, s[4:5]
	s_waitcnt lgkmcnt(0)
	s_barrier
	s_and_saveexec_b64 s[4:5], vcc
	s_cbranch_execz .LBB0_11
; %bb.10:
	ds_read2_b64 v[20:23], v208 offset1:7
	ds_read2_b64 v[24:27], v208 offset0:14 offset1:21
	ds_read2_b64 v[28:31], v208 offset0:28 offset1:35
	;; [unrolled: 1-line block ×7, first 2 shown]
	ds_read_b64 v[54:55], v208 offset:896
.LBB0_11:
	s_or_b64 exec, exec, s[4:5]
	s_waitcnt lgkmcnt(0)
	s_barrier
	s_and_saveexec_b64 s[4:5], vcc
	s_cbranch_execz .LBB0_13
; %bb.12:
	v_pk_add_f32 v[32:33], v[22:23], v[20:21]
	v_pk_add_f32 v[142:143], v[22:23], v[54:55] neg_lo:[0,1] neg_hi:[0,1]
	v_pk_add_f32 v[32:33], v[24:25], v[32:33]
	s_mov_b32 s26, 0xbeb8f4ab
	v_pk_add_f32 v[32:33], v[26:27], v[32:33]
	v_pk_add_f32 v[140:141], v[54:55], v[22:23]
	;; [unrolled: 1-line block ×5, first 2 shown]
	v_pk_add_f32 v[138:139], v[24:25], v[14:15] neg_lo:[0,1] neg_hi:[0,1]
	v_pk_add_f32 v[32:33], v[48:49], v[32:33]
	s_mov_b32 s16, 0x3f6eb680
	v_pk_add_f32 v[32:33], v[50:51], v[32:33]
	s_mov_b32 s40, 0xbf2c7751
	v_pk_add_f32 v[32:33], v[44:45], v[32:33]
	v_pk_add_f32 v[120:121], v[18:19], v[28:29]
	;; [unrolled: 1-line block ×3, first 2 shown]
	v_pk_add_f32 v[126:127], v[28:29], v[18:19] neg_lo:[0,1] neg_hi:[0,1]
	v_pk_add_f32 v[32:33], v[40:41], v[32:33]
	v_pk_add_f32 v[112:113], v[16:17], v[30:31]
	;; [unrolled: 1-line block ×3, first 2 shown]
	v_pk_add_f32 v[118:119], v[30:31], v[16:17] neg_lo:[0,1] neg_hi:[0,1]
	v_pk_add_f32 v[32:33], v[16:17], v[32:33]
	s_mov_b32 s14, 0x3f3d2fb0
	v_pk_add_f32 v[32:33], v[18:19], v[32:33]
	v_pk_mul_f32 v[18:19], v[138:139], s[40:41] op_sel_hi:[1,0]
	v_pk_add_f32 v[32:33], v[12:13], v[32:33]
	v_pk_fma_f32 v[24:25], v[136:137], s[14:15], v[18:19] op_sel:[0,0,1] op_sel_hi:[1,0,0]
	v_pk_add_f32 v[32:33], v[14:15], v[32:33]
	v_pk_mul_f32 v[14:15], v[142:143], s[26:27] op_sel_hi:[1,0]
	v_pk_fma_f32 v[236:237], v[136:137], s[14:15], v[18:19] op_sel:[0,0,1] op_sel_hi:[1,0,0] neg_lo:[0,0,1] neg_hi:[0,0,1]
	v_pk_fma_f32 v[16:17], v[140:141], s[16:17], v[14:15] op_sel:[0,0,1] op_sel_hi:[1,0,0]
	v_pk_fma_f32 v[240:241], v[140:141], s[16:17], v[14:15] op_sel:[0,0,1] op_sel_hi:[1,0,0] neg_lo:[0,0,1] neg_hi:[0,0,1]
	v_accvgpr_write_b32 a1, v17
	v_mov_b32_e32 v17, v241
	v_pk_add_f32 v[134:135], v[26:27], v[12:13] neg_lo:[0,1] neg_hi:[0,1]
	v_pk_add_f32 v[22:23], v[20:21], v[16:17]
	v_accvgpr_write_b32 a3, v25
	v_mov_b32_e32 v25, v237
	s_mov_b32 s48, 0xbf65296c
	v_pk_add_f32 v[128:129], v[12:13], v[26:27]
	v_pk_add_f32 v[26:27], v[24:25], v[22:23]
	s_mov_b32 s10, 0x3ee437d1
	v_pk_mul_f32 v[24:25], v[134:135], s[48:49] op_sel_hi:[1,0]
	s_mov_b32 s38, 0xbf7ee86f
	v_pk_fma_f32 v[28:29], v[128:129], s[10:11], v[24:25] op_sel:[0,0,1] op_sel_hi:[1,0,0]
	v_pk_fma_f32 v[232:233], v[128:129], s[10:11], v[24:25] op_sel:[0,0,1] op_sel_hi:[1,0,0] neg_lo:[0,0,1] neg_hi:[0,0,1]
	v_accvgpr_write_b32 a5, v29
	v_mov_b32_e32 v29, v233
	v_pk_add_f32 v[30:31], v[28:29], v[26:27]
	s_mov_b32 s6, 0x3dbcf732
	v_pk_mul_f32 v[28:29], v[126:127], s[38:39] op_sel_hi:[1,0]
	v_lshl_add_u32 v253, v56, 3, v253
	v_pk_add_f32 v[56:57], v[54:55], v[32:33]
	v_pk_fma_f32 v[32:33], v[120:121], s[6:7], v[28:29] op_sel:[0,0,1] op_sel_hi:[1,0,0]
	v_pk_fma_f32 v[228:229], v[120:121], s[6:7], v[28:29] op_sel:[0,0,1] op_sel_hi:[1,0,0] neg_lo:[0,0,1] neg_hi:[0,0,1]
	v_accvgpr_write_b32 a7, v33
	v_mov_b32_e32 v33, v229
	s_mov_b32 s20, 0xbf763a35
	v_pk_add_f32 v[34:35], v[32:33], v[30:31]
	s_mov_b32 s18, 0xbe8c1d8e
	v_pk_mul_f32 v[32:33], v[118:119], s[20:21] op_sel_hi:[1,0]
	v_pk_add_f32 v[106:107], v[48:49], v[42:43] neg_lo:[0,1] neg_hi:[0,1]
	v_pk_fma_f32 v[36:37], v[112:113], s[18:19], v[32:33] op_sel:[0,0,1] op_sel_hi:[1,0,0]
	v_pk_fma_f32 v[224:225], v[112:113], s[18:19], v[32:33] op_sel:[0,0,1] op_sel_hi:[1,0,0] neg_lo:[0,0,1] neg_hi:[0,0,1]
	v_accvgpr_write_b32 a9, v37
	v_mov_b32_e32 v37, v225
	s_mov_b32 s24, 0xbf4c4adb
	v_pk_add_f32 v[104:105], v[42:43], v[48:49]
	v_pk_add_f32 v[38:39], v[36:37], v[34:35]
	s_mov_b32 s22, 0xbf1a4643
	v_pk_mul_f32 v[36:37], v[106:107], s[24:25] op_sel_hi:[1,0]
	v_pk_add_f32 v[96:97], v[40:41], v[50:51]
	v_pk_add_f32 v[102:103], v[50:51], v[40:41] neg_lo:[0,1] neg_hi:[0,1]
	v_pk_fma_f32 v[40:41], v[104:105], s[22:23], v[36:37] op_sel:[0,0,1] op_sel_hi:[1,0,0]
	v_pk_fma_f32 v[36:37], v[104:105], s[22:23], v[36:37] op_sel:[0,0,1] op_sel_hi:[1,0,0] neg_lo:[0,0,1] neg_hi:[0,0,1]
	v_accvgpr_write_b32 a11, v41
	v_mov_b32_e32 v41, v37
	s_mov_b32 s30, 0xbf06c442
	v_pk_add_f32 v[42:43], v[40:41], v[38:39]
	s_mov_b32 s28, 0xbf59a7d5
	v_pk_mul_f32 v[40:41], v[102:103], s[30:31] op_sel_hi:[1,0]
	v_pk_add_f32 v[88:89], v[46:47], v[44:45]
	v_pk_add_f32 v[90:91], v[44:45], v[46:47] neg_lo:[0,1] neg_hi:[0,1]
	v_pk_fma_f32 v[44:45], v[96:97], s[28:29], v[40:41] op_sel:[0,0,1] op_sel_hi:[1,0,0]
	v_pk_fma_f32 v[40:41], v[96:97], s[28:29], v[40:41] op_sel:[0,0,1] op_sel_hi:[1,0,0] neg_lo:[0,0,1] neg_hi:[0,0,1]
	v_accvgpr_write_b32 a13, v45
	v_mov_b32_e32 v45, v41
	s_mov_b32 s36, 0xbe3c28d5
	v_pk_add_f32 v[46:47], v[44:45], v[42:43]
	s_mov_b32 s34, 0xbf7ba420
	v_pk_mul_f32 v[44:45], v[90:91], s[36:37] op_sel_hi:[1,0]
	v_pk_mul_f32 v[54:55], v[138:139], s[38:39] op_sel_hi:[1,0]
	v_pk_fma_f32 v[48:49], v[88:89], s[34:35], v[44:45] op_sel:[0,0,1] op_sel_hi:[1,0,0]
	v_pk_fma_f32 v[44:45], v[88:89], s[34:35], v[44:45] op_sel:[0,0,1] op_sel_hi:[1,0,0] neg_lo:[0,0,1] neg_hi:[0,0,1]
	v_accvgpr_write_b32 a15, v49
	v_mov_b32_e32 v49, v45
	v_pk_add_f32 v[46:47], v[48:49], v[46:47]
	v_pk_mul_f32 v[48:49], v[142:143], s[40:41] op_sel_hi:[1,0]
	v_pk_fma_f32 v[58:59], v[136:137], s[6:7], v[54:55] op_sel:[0,0,1] op_sel_hi:[1,0,0]
	v_pk_fma_f32 v[50:51], v[140:141], s[14:15], v[48:49] op_sel:[0,0,1] op_sel_hi:[1,0,0]
	v_pk_fma_f32 v[48:49], v[140:141], s[14:15], v[48:49] op_sel:[0,0,1] op_sel_hi:[1,0,0] neg_lo:[0,0,1] neg_hi:[0,0,1]
	v_mov_b32_e32 v41, v51
	v_mov_b32_e32 v51, v49
	v_pk_fma_f32 v[54:55], v[136:137], s[6:7], v[54:55] op_sel:[0,0,1] op_sel_hi:[1,0,0] neg_lo:[0,0,1] neg_hi:[0,0,1]
	ds_write2_b64 v253, v[56:57], v[46:47] offset1:1
	v_pk_add_f32 v[56:57], v[20:21], v[50:51]
	v_mov_b32_e32 v45, v59
	v_mov_b32_e32 v59, v55
	v_pk_add_f32 v[60:61], v[58:59], v[56:57]
	v_pk_mul_f32 v[58:59], v[134:135], s[24:25] op_sel_hi:[1,0]
	s_mov_b32 s52, 0x3f06c442
	v_pk_fma_f32 v[62:63], v[128:129], s[22:23], v[58:59] op_sel:[0,0,1] op_sel_hi:[1,0,0]
	v_pk_fma_f32 v[58:59], v[128:129], s[22:23], v[58:59] op_sel:[0,0,1] op_sel_hi:[1,0,0] neg_lo:[0,0,1] neg_hi:[0,0,1]
	v_mov_b32_e32 v225, v63
	v_mov_b32_e32 v63, v59
	v_pk_add_f32 v[64:65], v[62:63], v[60:61]
	v_pk_mul_f32 v[62:63], v[126:127], s[36:37] op_sel_hi:[1,0]
	s_mov_b32 s50, 0x3f763a35
	v_pk_fma_f32 v[66:67], v[120:121], s[34:35], v[62:63] op_sel:[0,0,1] op_sel_hi:[1,0,0]
	v_pk_fma_f32 v[62:63], v[120:121], s[34:35], v[62:63] op_sel:[0,0,1] op_sel_hi:[1,0,0] neg_lo:[0,0,1] neg_hi:[0,0,1]
	;; [unrolled: 7-line block ×4, first 2 shown]
	v_mov_b32_e32 v74, v68
	v_mov_b32_e32 v75, v71
	v_pk_add_f32 v[76:77], v[74:75], v[72:73]
	v_pk_mul_f32 v[74:75], v[102:103], s[42:43] op_sel_hi:[1,0]
	v_pk_mul_f32 v[86:87], v[138:139], s[24:25] op_sel_hi:[1,0]
	v_pk_fma_f32 v[72:73], v[96:97], s[10:11], v[74:75] op_sel:[0,0,1] op_sel_hi:[1,0,0]
	v_pk_fma_f32 v[74:75], v[96:97], s[10:11], v[74:75] op_sel:[0,0,1] op_sel_hi:[1,0,0] neg_lo:[0,0,1] neg_hi:[0,0,1]
	v_mov_b32_e32 v78, v72
	v_mov_b32_e32 v79, v75
	v_pk_add_f32 v[80:81], v[78:79], v[76:77]
	v_pk_mul_f32 v[78:79], v[90:91], s[44:45] op_sel_hi:[1,0]
	s_mov_b32 s46, 0x3e3c28d5
	v_pk_fma_f32 v[76:77], v[88:89], s[16:17], v[78:79] op_sel:[0,0,1] op_sel_hi:[1,0,0]
	v_pk_fma_f32 v[78:79], v[88:89], s[16:17], v[78:79] op_sel:[0,0,1] op_sel_hi:[1,0,0] neg_lo:[0,0,1] neg_hi:[0,0,1]
	v_mov_b32_e32 v82, v76
	v_mov_b32_e32 v83, v79
	v_pk_add_f32 v[144:145], v[82:83], v[80:81]
	v_pk_mul_f32 v[82:83], v[142:143], s[48:49] op_sel_hi:[1,0]
	v_pk_mul_f32 v[150:151], v[138:139], s[36:37] op_sel_hi:[1,0]
	v_pk_fma_f32 v[80:81], v[140:141], s[10:11], v[82:83] op_sel:[0,0,1] op_sel_hi:[1,0,0]
	v_pk_fma_f32 v[82:83], v[140:141], s[10:11], v[82:83] op_sel:[0,0,1] op_sel_hi:[1,0,0] neg_lo:[0,0,1] neg_hi:[0,0,1]
	v_mov_b32_e32 v84, v80
	v_mov_b32_e32 v85, v83
	v_pk_add_f32 v[92:93], v[20:21], v[84:85]
	v_pk_fma_f32 v[84:85], v[136:137], s[22:23], v[86:87] op_sel:[0,0,1] op_sel_hi:[1,0,0]
	v_pk_fma_f32 v[86:87], v[136:137], s[22:23], v[86:87] op_sel:[0,0,1] op_sel_hi:[1,0,0] neg_lo:[0,0,1] neg_hi:[0,0,1]
	v_mov_b32_e32 v94, v84
	v_mov_b32_e32 v95, v87
	v_pk_add_f32 v[98:99], v[94:95], v[92:93]
	v_pk_mul_f32 v[94:95], v[134:135], s[46:47] op_sel_hi:[1,0]
	s_mov_b32 s46, 0x3f2c7751
	v_pk_fma_f32 v[92:93], v[128:129], s[34:35], v[94:95] op_sel:[0,0,1] op_sel_hi:[1,0,0]
	v_pk_fma_f32 v[94:95], v[128:129], s[34:35], v[94:95] op_sel:[0,0,1] op_sel_hi:[1,0,0] neg_lo:[0,0,1] neg_hi:[0,0,1]
	v_mov_b32_e32 v100, v92
	v_mov_b32_e32 v101, v95
	v_pk_add_f32 v[108:109], v[100:101], v[98:99]
	v_pk_mul_f32 v[100:101], v[126:127], s[50:51] op_sel_hi:[1,0]
	s_mov_b32 s54, 0x3f4c4adb
	v_pk_fma_f32 v[98:99], v[120:121], s[18:19], v[100:101] op_sel:[0,0,1] op_sel_hi:[1,0,0]
	v_pk_fma_f32 v[100:101], v[120:121], s[18:19], v[100:101] op_sel:[0,0,1] op_sel_hi:[1,0,0] neg_lo:[0,0,1] neg_hi:[0,0,1]
	v_mov_b32_e32 v110, v98
	v_mov_b32_e32 v111, v101
	v_pk_add_f32 v[114:115], v[110:111], v[108:109]
	v_pk_mul_f32 v[110:111], v[118:119], s[46:47] op_sel_hi:[1,0]
	v_pk_mul_f32 v[182:183], v[138:139], s[52:53] op_sel_hi:[1,0]
	v_pk_fma_f32 v[108:109], v[112:113], s[14:15], v[110:111] op_sel:[0,0,1] op_sel_hi:[1,0,0]
	v_pk_fma_f32 v[110:111], v[112:113], s[14:15], v[110:111] op_sel:[0,0,1] op_sel_hi:[1,0,0] neg_lo:[0,0,1] neg_hi:[0,0,1]
	v_mov_b32_e32 v116, v108
	v_mov_b32_e32 v117, v111
	v_pk_add_f32 v[122:123], v[116:117], v[114:115]
	v_pk_mul_f32 v[116:117], v[106:107], s[26:27] op_sel_hi:[1,0]
	v_pk_mul_f32 v[218:219], v[138:139], s[50:51] op_sel_hi:[1,0]
	v_pk_fma_f32 v[114:115], v[104:105], s[16:17], v[116:117] op_sel:[0,0,1] op_sel_hi:[1,0,0]
	v_pk_fma_f32 v[116:117], v[104:105], s[16:17], v[116:117] op_sel:[0,0,1] op_sel_hi:[1,0,0] neg_lo:[0,0,1] neg_hi:[0,0,1]
	v_mov_b32_e32 v124, v114
	v_mov_b32_e32 v125, v117
	v_pk_add_f32 v[130:131], v[124:125], v[122:123]
	v_pk_mul_f32 v[124:125], v[102:103], s[38:39] op_sel_hi:[1,0]
	v_pk_fma_f32 v[60:61], v[136:137], s[18:19], v[218:219] op_sel:[0,0,1] op_sel_hi:[1,0,0]
	v_pk_fma_f32 v[122:123], v[96:97], s[6:7], v[124:125] op_sel:[0,0,1] op_sel_hi:[1,0,0]
	v_pk_fma_f32 v[124:125], v[96:97], s[6:7], v[124:125] op_sel:[0,0,1] op_sel_hi:[1,0,0] neg_lo:[0,0,1] neg_hi:[0,0,1]
	v_mov_b32_e32 v132, v122
	v_mov_b32_e32 v133, v125
	v_pk_add_f32 v[146:147], v[132:133], v[130:131]
	v_pk_mul_f32 v[132:133], v[90:91], s[30:31] op_sel_hi:[1,0]
	v_pk_fma_f32 v[218:219], v[136:137], s[18:19], v[218:219] op_sel:[0,0,1] op_sel_hi:[1,0,0] neg_lo:[0,0,1] neg_hi:[0,0,1]
	v_pk_fma_f32 v[130:131], v[88:89], s[28:29], v[132:133] op_sel:[0,0,1] op_sel_hi:[1,0,0]
	v_pk_fma_f32 v[132:133], v[88:89], s[28:29], v[132:133] op_sel:[0,0,1] op_sel_hi:[1,0,0] neg_lo:[0,0,1] neg_hi:[0,0,1]
	v_mov_b32_e32 v148, v130
	v_mov_b32_e32 v149, v133
	v_pk_add_f32 v[146:147], v[148:149], v[146:147]
	ds_write2_b64 v253, v[144:145], v[146:147] offset0:2 offset1:3
	v_pk_mul_f32 v[146:147], v[142:143], s[38:39] op_sel_hi:[1,0]
	v_mov_b32_e32 v222, v60
	v_pk_fma_f32 v[144:145], v[140:141], s[6:7], v[146:147] op_sel:[0,0,1] op_sel_hi:[1,0,0]
	v_pk_fma_f32 v[146:147], v[140:141], s[6:7], v[146:147] op_sel:[0,0,1] op_sel_hi:[1,0,0] neg_lo:[0,0,1] neg_hi:[0,0,1]
	v_mov_b32_e32 v148, v144
	v_mov_b32_e32 v149, v147
	v_pk_add_f32 v[152:153], v[20:21], v[148:149]
	v_pk_fma_f32 v[148:149], v[136:137], s[34:35], v[150:151] op_sel:[0,0,1] op_sel_hi:[1,0,0]
	v_pk_fma_f32 v[150:151], v[136:137], s[34:35], v[150:151] op_sel:[0,0,1] op_sel_hi:[1,0,0] neg_lo:[0,0,1] neg_hi:[0,0,1]
	v_mov_b32_e32 v154, v148
	v_mov_b32_e32 v155, v151
	v_pk_add_f32 v[156:157], v[154:155], v[152:153]
	v_pk_mul_f32 v[154:155], v[134:135], s[50:51] op_sel_hi:[1,0]
	v_mov_b32_e32 v223, v219
	v_pk_fma_f32 v[152:153], v[128:129], s[18:19], v[154:155] op_sel:[0,0,1] op_sel_hi:[1,0,0]
	v_pk_fma_f32 v[154:155], v[128:129], s[18:19], v[154:155] op_sel:[0,0,1] op_sel_hi:[1,0,0] neg_lo:[0,0,1] neg_hi:[0,0,1]
	v_mov_b32_e32 v158, v152
	v_mov_b32_e32 v159, v155
	v_pk_add_f32 v[160:161], v[158:159], v[156:157]
	v_pk_mul_f32 v[158:159], v[126:127], s[44:45] op_sel_hi:[1,0]
	v_pk_mul_f32 v[254:255], v[138:139], s[42:43] op_sel_hi:[1,0]
	v_pk_fma_f32 v[156:157], v[120:121], s[16:17], v[158:159] op_sel:[0,0,1] op_sel_hi:[1,0,0]
	v_pk_fma_f32 v[158:159], v[120:121], s[16:17], v[158:159] op_sel:[0,0,1] op_sel_hi:[1,0,0] neg_lo:[0,0,1] neg_hi:[0,0,1]
	v_mov_b32_e32 v162, v156
	v_mov_b32_e32 v163, v159
	v_pk_add_f32 v[164:165], v[162:163], v[160:161]
	v_pk_mul_f32 v[162:163], v[118:119], s[48:49] op_sel_hi:[1,0]
	v_pk_fma_f32 v[210:211], v[136:137], s[10:11], v[254:255] op_sel:[0,0,1] op_sel_hi:[1,0,0]
	v_pk_fma_f32 v[160:161], v[112:113], s[10:11], v[162:163] op_sel:[0,0,1] op_sel_hi:[1,0,0]
	v_pk_fma_f32 v[162:163], v[112:113], s[10:11], v[162:163] op_sel:[0,0,1] op_sel_hi:[1,0,0] neg_lo:[0,0,1] neg_hi:[0,0,1]
	v_mov_b32_e32 v166, v160
	v_mov_b32_e32 v167, v163
	v_pk_add_f32 v[168:169], v[166:167], v[164:165]
	v_pk_mul_f32 v[166:167], v[106:107], s[30:31] op_sel_hi:[1,0]
	v_pk_fma_f32 v[254:255], v[136:137], s[10:11], v[254:255] op_sel:[0,0,1] op_sel_hi:[1,0,0] neg_lo:[0,0,1] neg_hi:[0,0,1]
	v_pk_fma_f32 v[164:165], v[104:105], s[28:29], v[166:167] op_sel:[0,0,1] op_sel_hi:[1,0,0]
	v_pk_fma_f32 v[166:167], v[104:105], s[28:29], v[166:167] op_sel:[0,0,1] op_sel_hi:[1,0,0] neg_lo:[0,0,1] neg_hi:[0,0,1]
	v_mov_b32_e32 v170, v164
	v_mov_b32_e32 v171, v167
	v_pk_add_f32 v[172:173], v[170:171], v[168:169]
	v_pk_mul_f32 v[170:171], v[102:103], s[54:55] op_sel_hi:[1,0]
	v_mov_b32_e32 v12, v210
	v_pk_fma_f32 v[168:169], v[96:97], s[22:23], v[170:171] op_sel:[0,0,1] op_sel_hi:[1,0,0]
	v_pk_fma_f32 v[170:171], v[96:97], s[22:23], v[170:171] op_sel:[0,0,1] op_sel_hi:[1,0,0] neg_lo:[0,0,1] neg_hi:[0,0,1]
	v_mov_b32_e32 v174, v168
	v_mov_b32_e32 v175, v171
	v_pk_add_f32 v[176:177], v[174:175], v[172:173]
	v_pk_mul_f32 v[174:175], v[90:91], s[46:47] op_sel_hi:[1,0]
	v_mov_b32_e32 v13, v255
	;; [unrolled: 7-line block ×3, first 2 shown]
	v_pk_fma_f32 v[176:177], v[140:141], s[18:19], v[178:179] op_sel:[0,0,1] op_sel_hi:[1,0,0]
	v_pk_fma_f32 v[178:179], v[140:141], s[18:19], v[178:179] op_sel:[0,0,1] op_sel_hi:[1,0,0] neg_lo:[0,0,1] neg_hi:[0,0,1]
	v_mov_b32_e32 v180, v176
	v_mov_b32_e32 v181, v179
	v_pk_add_f32 v[184:185], v[20:21], v[180:181]
	v_pk_fma_f32 v[180:181], v[136:137], s[28:29], v[182:183] op_sel:[0,0,1] op_sel_hi:[1,0,0]
	v_pk_fma_f32 v[182:183], v[136:137], s[28:29], v[182:183] op_sel:[0,0,1] op_sel_hi:[1,0,0] neg_lo:[0,0,1] neg_hi:[0,0,1]
	v_mov_b32_e32 v186, v180
	v_mov_b32_e32 v187, v183
	v_pk_add_f32 v[188:189], v[186:187], v[184:185]
	v_pk_mul_f32 v[186:187], v[134:135], s[46:47] op_sel_hi:[1,0]
	v_mov_b32_e32 v37, v221
	v_pk_fma_f32 v[184:185], v[128:129], s[14:15], v[186:187] op_sel:[0,0,1] op_sel_hi:[1,0,0]
	v_pk_fma_f32 v[186:187], v[128:129], s[14:15], v[186:187] op_sel:[0,0,1] op_sel_hi:[1,0,0] neg_lo:[0,0,1] neg_hi:[0,0,1]
	v_mov_b32_e32 v190, v184
	v_mov_b32_e32 v191, v187
	v_pk_add_f32 v[192:193], v[190:191], v[188:189]
	v_pk_mul_f32 v[190:191], v[126:127], s[48:49] op_sel_hi:[1,0]
	s_mov_b32 s48, 0x3f7ee86f
	v_pk_fma_f32 v[188:189], v[120:121], s[10:11], v[190:191] op_sel:[0,0,1] op_sel_hi:[1,0,0]
	v_pk_fma_f32 v[190:191], v[120:121], s[10:11], v[190:191] op_sel:[0,0,1] op_sel_hi:[1,0,0] neg_lo:[0,0,1] neg_hi:[0,0,1]
	v_mov_b32_e32 v194, v188
	v_mov_b32_e32 v195, v191
	v_pk_add_f32 v[196:197], v[194:195], v[192:193]
	v_pk_mul_f32 v[194:195], v[118:119], s[36:37] op_sel_hi:[1,0]
	v_pk_mul_f32 v[138:139], v[138:139], s[44:45] op_sel_hi:[1,0]
	v_pk_fma_f32 v[192:193], v[112:113], s[34:35], v[194:195] op_sel:[0,0,1] op_sel_hi:[1,0,0]
	v_pk_fma_f32 v[194:195], v[112:113], s[34:35], v[194:195] op_sel:[0,0,1] op_sel_hi:[1,0,0] neg_lo:[0,0,1] neg_hi:[0,0,1]
	v_mov_b32_e32 v198, v192
	v_mov_b32_e32 v199, v195
	v_pk_add_f32 v[200:201], v[198:199], v[196:197]
	v_pk_mul_f32 v[198:199], v[106:107], s[48:49] op_sel_hi:[1,0]
	v_mov_b32_e32 v255, v211
	v_pk_fma_f32 v[196:197], v[104:105], s[6:7], v[198:199] op_sel:[0,0,1] op_sel_hi:[1,0,0]
	v_pk_fma_f32 v[198:199], v[104:105], s[6:7], v[198:199] op_sel:[0,0,1] op_sel_hi:[1,0,0] neg_lo:[0,0,1] neg_hi:[0,0,1]
	v_mov_b32_e32 v202, v196
	v_mov_b32_e32 v203, v199
	v_pk_add_f32 v[204:205], v[202:203], v[200:201]
	v_pk_mul_f32 v[202:203], v[102:103], s[26:27] op_sel_hi:[1,0]
	v_mov_b32_e32 v219, v61
	v_pk_fma_f32 v[200:201], v[96:97], s[16:17], v[202:203] op_sel:[0,0,1] op_sel_hi:[1,0,0]
	v_pk_fma_f32 v[202:203], v[96:97], s[16:17], v[202:203] op_sel:[0,0,1] op_sel_hi:[1,0,0] neg_lo:[0,0,1] neg_hi:[0,0,1]
	v_mov_b32_e32 v206, v200
	v_mov_b32_e32 v207, v203
	v_pk_add_f32 v[214:215], v[206:207], v[204:205]
	v_pk_mul_f32 v[206:207], v[90:91], s[24:25] op_sel_hi:[1,0]
	v_mov_b32_e32 v179, v177
	v_pk_fma_f32 v[204:205], v[88:89], s[22:23], v[206:207] op_sel:[0,0,1] op_sel_hi:[1,0,0]
	v_pk_fma_f32 v[206:207], v[88:89], s[22:23], v[206:207] op_sel:[0,0,1] op_sel_hi:[1,0,0] neg_lo:[0,0,1] neg_hi:[0,0,1]
	v_mov_b32_e32 v216, v204
	v_mov_b32_e32 v217, v207
	v_pk_add_f32 v[214:215], v[216:217], v[214:215]
	ds_write2_b64 v253, v[212:213], v[214:215] offset0:4 offset1:5
	v_pk_mul_f32 v[212:213], v[142:143], s[24:25] op_sel_hi:[1,0]
	v_mov_b32_e32 v147, v145
	v_pk_fma_f32 v[214:215], v[140:141], s[22:23], v[212:213] op_sel:[0,0,1] op_sel_hi:[1,0,0]
	v_pk_fma_f32 v[212:213], v[140:141], s[22:23], v[212:213] op_sel:[0,0,1] op_sel_hi:[1,0,0] neg_lo:[0,0,1] neg_hi:[0,0,1]
	v_mov_b32_e32 v216, v214
	v_mov_b32_e32 v217, v213
	v_pk_add_f32 v[216:217], v[20:21], v[216:217]
	v_mov_b32_e32 v213, v215
	v_pk_add_f32 v[216:217], v[222:223], v[216:217]
	v_pk_mul_f32 v[222:223], v[134:135], s[26:27] op_sel_hi:[1,0]
	v_mov_b32_e32 v183, v181
	v_pk_fma_f32 v[56:57], v[128:129], s[16:17], v[222:223] op_sel:[0,0,1] op_sel_hi:[1,0,0]
	v_pk_fma_f32 v[222:223], v[128:129], s[16:17], v[222:223] op_sel:[0,0,1] op_sel_hi:[1,0,0] neg_lo:[0,0,1] neg_hi:[0,0,1]
	v_mov_b32_e32 v226, v56
	v_mov_b32_e32 v227, v223
	v_pk_add_f32 v[216:217], v[226:227], v[216:217]
	v_pk_mul_f32 v[226:227], v[126:127], s[30:31] op_sel_hi:[1,0]
	v_mov_b32_e32 v223, v57
	v_pk_fma_f32 v[50:51], v[120:121], s[28:29], v[226:227] op_sel:[0,0,1] op_sel_hi:[1,0,0]
	v_pk_fma_f32 v[226:227], v[120:121], s[28:29], v[226:227] op_sel:[0,0,1] op_sel_hi:[1,0,0] neg_lo:[0,0,1] neg_hi:[0,0,1]
	v_mov_b32_e32 v230, v50
	v_mov_b32_e32 v231, v227
	v_pk_add_f32 v[216:217], v[230:231], v[216:217]
	v_pk_mul_f32 v[230:231], v[118:119], s[48:49] op_sel_hi:[1,0]
	v_mov_b32_e32 v227, v51
	v_pk_fma_f32 v[46:47], v[112:113], s[6:7], v[230:231] op_sel:[0,0,1] op_sel_hi:[1,0,0]
	v_pk_fma_f32 v[230:231], v[112:113], s[6:7], v[230:231] op_sel:[0,0,1] op_sel_hi:[1,0,0] neg_lo:[0,0,1] neg_hi:[0,0,1]
	v_mov_b32_e32 v234, v46
	v_mov_b32_e32 v235, v231
	v_pk_add_f32 v[216:217], v[234:235], v[216:217]
	v_pk_mul_f32 v[234:235], v[106:107], s[40:41] op_sel_hi:[1,0]
	v_mov_b32_e32 v231, v47
	v_pk_fma_f32 v[42:43], v[104:105], s[14:15], v[234:235] op_sel:[0,0,1] op_sel_hi:[1,0,0]
	v_pk_fma_f32 v[234:235], v[104:105], s[14:15], v[234:235] op_sel:[0,0,1] op_sel_hi:[1,0,0] neg_lo:[0,0,1] neg_hi:[0,0,1]
	v_mov_b32_e32 v238, v42
	v_mov_b32_e32 v239, v235
	v_pk_add_f32 v[216:217], v[238:239], v[216:217]
	v_pk_mul_f32 v[238:239], v[102:103], s[36:37] op_sel_hi:[1,0]
	v_mov_b32_e32 v235, v43
	v_pk_fma_f32 v[38:39], v[96:97], s[34:35], v[238:239] op_sel:[0,0,1] op_sel_hi:[1,0,0]
	v_pk_fma_f32 v[238:239], v[96:97], s[34:35], v[238:239] op_sel:[0,0,1] op_sel_hi:[1,0,0] neg_lo:[0,0,1] neg_hi:[0,0,1]
	v_mov_b32_e32 v242, v38
	v_mov_b32_e32 v243, v239
	v_pk_add_f32 v[216:217], v[242:243], v[216:217]
	v_pk_mul_f32 v[242:243], v[90:91], s[42:43] op_sel_hi:[1,0]
	v_mov_b32_e32 v239, v39
	v_pk_fma_f32 v[244:245], v[88:89], s[10:11], v[242:243] op_sel:[0,0,1] op_sel_hi:[1,0,0]
	v_pk_fma_f32 v[242:243], v[88:89], s[10:11], v[242:243] op_sel:[0,0,1] op_sel_hi:[1,0,0] neg_lo:[0,0,1] neg_hi:[0,0,1]
	v_mov_b32_e32 v246, v244
	v_mov_b32_e32 v247, v243
	v_pk_add_f32 v[216:217], v[246:247], v[216:217]
	v_pk_mul_f32 v[246:247], v[142:143], s[30:31] op_sel_hi:[1,0]
	v_mov_b32_e32 v243, v245
	v_pk_fma_f32 v[248:249], v[140:141], s[28:29], v[246:247] op_sel:[0,0,1] op_sel_hi:[1,0,0]
	v_pk_fma_f32 v[246:247], v[140:141], s[28:29], v[246:247] op_sel:[0,0,1] op_sel_hi:[1,0,0] neg_lo:[0,0,1] neg_hi:[0,0,1]
	v_mov_b32_e32 v250, v248
	v_mov_b32_e32 v251, v247
	v_pk_add_f32 v[250:251], v[20:21], v[250:251]
	v_mov_b32_e32 v247, v249
	v_pk_add_f32 v[12:13], v[12:13], v[250:251]
	v_pk_mul_f32 v[250:251], v[134:135], s[38:39] op_sel_hi:[1,0]
	v_pk_mul_f32 v[134:135], v[134:135], s[30:31] op_sel_hi:[1,0]
	v_pk_fma_f32 v[220:221], v[128:129], s[6:7], v[250:251] op_sel:[0,0,1] op_sel_hi:[1,0,0]
	v_pk_fma_f32 v[250:251], v[128:129], s[6:7], v[250:251] op_sel:[0,0,1] op_sel_hi:[1,0,0] neg_lo:[0,0,1] neg_hi:[0,0,1]
	v_mov_b32_e32 v52, v220
	v_mov_b32_e32 v53, v251
	v_pk_add_f32 v[12:13], v[52:53], v[12:13]
	v_pk_mul_f32 v[52:53], v[126:127], s[54:55] op_sel_hi:[1,0]
	v_mov_b32_e32 v220, v14
	v_pk_fma_f32 v[34:35], v[120:121], s[22:23], v[52:53] op_sel:[0,0,1] op_sel_hi:[1,0,0]
	v_pk_fma_f32 v[52:53], v[120:121], s[22:23], v[52:53] op_sel:[0,0,1] op_sel_hi:[1,0,0] neg_lo:[0,0,1] neg_hi:[0,0,1]
	v_mov_b32_e32 v14, v34
	v_mov_b32_e32 v15, v53
	v_pk_add_f32 v[12:13], v[14:15], v[12:13]
	v_pk_mul_f32 v[14:15], v[118:119], s[26:27] op_sel_hi:[1,0]
	v_pk_mul_f32 v[126:127], v[126:127], s[46:47] op_sel_hi:[1,0]
	v_pk_fma_f32 v[32:33], v[112:113], s[16:17], v[14:15] op_sel:[0,0,1] op_sel_hi:[1,0,0]
	v_pk_fma_f32 v[14:15], v[112:113], s[16:17], v[14:15] op_sel:[0,0,1] op_sel_hi:[1,0,0] neg_lo:[0,0,1] neg_hi:[0,0,1]
	v_mov_b32_e32 v16, v32
	v_mov_b32_e32 v17, v15
	v_pk_add_f32 v[12:13], v[16:17], v[12:13]
	v_pk_mul_f32 v[16:17], v[106:107], s[36:37] op_sel_hi:[1,0]
	v_pk_mul_f32 v[118:119], v[118:119], s[24:25] op_sel_hi:[1,0]
	;; [unrolled: 7-line block ×4, first 2 shown]
	v_pk_fma_f32 v[26:27], v[88:89], s[18:19], v[22:23] op_sel:[0,0,1] op_sel_hi:[1,0,0]
	v_pk_fma_f32 v[22:23], v[88:89], s[18:19], v[22:23] op_sel:[0,0,1] op_sel_hi:[1,0,0] neg_lo:[0,0,1] neg_hi:[0,0,1]
	v_mov_b32_e32 v24, v26
	v_mov_b32_e32 v25, v23
	v_pk_add_f32 v[12:13], v[24:25], v[12:13]
	ds_write2_b64 v253, v[216:217], v[12:13] offset0:6 offset1:7
	v_pk_mul_f32 v[12:13], v[142:143], s[36:37] op_sel_hi:[1,0]
	v_pk_mul_f32 v[90:91], v[90:91], s[48:49] op_sel_hi:[1,0]
	v_pk_fma_f32 v[24:25], v[140:141], s[34:35], v[12:13] op_sel:[0,0,1] op_sel_hi:[1,0,0]
	v_pk_fma_f32 v[12:13], v[140:141], s[34:35], v[12:13] op_sel:[0,0,1] op_sel_hi:[1,0,0] neg_lo:[0,0,1] neg_hi:[0,0,1]
	v_pk_fma_f32 v[140:141], v[136:137], s[16:17], v[138:139] op_sel:[0,0,1] op_sel_hi:[1,0,0]
	v_pk_fma_f32 v[136:137], v[136:137], s[16:17], v[138:139] op_sel:[0,0,1] op_sel_hi:[1,0,0] neg_lo:[0,0,1] neg_hi:[0,0,1]
	v_mov_b32_e32 v138, v24
	v_mov_b32_e32 v139, v13
	v_pk_add_f32 v[138:139], v[20:21], v[138:139]
	v_mov_b32_e32 v142, v140
	v_mov_b32_e32 v143, v137
	v_pk_add_f32 v[138:139], v[142:143], v[138:139]
	v_pk_fma_f32 v[142:143], v[128:129], s[28:29], v[134:135] op_sel:[0,0,1] op_sel_hi:[1,0,0]
	v_pk_fma_f32 v[128:129], v[128:129], s[28:29], v[134:135] op_sel:[0,0,1] op_sel_hi:[1,0,0] neg_lo:[0,0,1] neg_hi:[0,0,1]
	v_mov_b32_e32 v134, v142
	v_mov_b32_e32 v135, v129
	v_pk_add_f32 v[134:135], v[134:135], v[138:139]
	v_pk_fma_f32 v[138:139], v[120:121], s[14:15], v[126:127] op_sel:[0,0,1] op_sel_hi:[1,0,0]
	v_pk_fma_f32 v[120:121], v[120:121], s[14:15], v[126:127] op_sel:[0,0,1] op_sel_hi:[1,0,0] neg_lo:[0,0,1] neg_hi:[0,0,1]
	;; [unrolled: 5-line block ×3, first 2 shown]
	v_mov_b32_e32 v13, v25
	v_mov_b32_e32 v118, v134
	;; [unrolled: 1-line block ×4, first 2 shown]
	v_pk_add_f32 v[12:13], v[20:21], v[12:13]
	v_pk_add_f32 v[118:119], v[118:119], v[126:127]
	v_pk_fma_f32 v[126:127], v[104:105], s[10:11], v[106:107] op_sel:[0,0,1] op_sel_hi:[1,0,0]
	v_pk_fma_f32 v[104:105], v[104:105], s[10:11], v[106:107] op_sel:[0,0,1] op_sel_hi:[1,0,0] neg_lo:[0,0,1] neg_hi:[0,0,1]
	v_pk_add_f32 v[12:13], v[136:137], v[12:13]
	v_mov_b32_e32 v129, v143
	v_mov_b32_e32 v106, v126
	v_mov_b32_e32 v107, v105
	v_pk_add_f32 v[12:13], v[128:129], v[12:13]
	v_mov_b32_e32 v121, v139
	v_pk_add_f32 v[106:107], v[106:107], v[118:119]
	v_pk_fma_f32 v[118:119], v[96:97], s[18:19], v[102:103] op_sel:[0,0,1] op_sel_hi:[1,0,0]
	v_pk_fma_f32 v[96:97], v[96:97], s[18:19], v[102:103] op_sel:[0,0,1] op_sel_hi:[1,0,0] neg_lo:[0,0,1] neg_hi:[0,0,1]
	v_pk_add_f32 v[12:13], v[120:121], v[12:13]
	v_mov_b32_e32 v113, v135
	v_mov_b32_e32 v102, v118
	v_mov_b32_e32 v103, v97
	v_pk_add_f32 v[12:13], v[112:113], v[12:13]
	v_mov_b32_e32 v105, v127
	;; [unrolled: 9-line block ×3, first 2 shown]
	v_pk_add_f32 v[90:91], v[90:91], v[102:103]
	v_pk_add_f32 v[12:13], v[88:89], v[12:13]
	ds_write2_b64 v253, v[90:91], v[12:13] offset0:8 offset1:9
	v_pk_add_f32 v[12:13], v[20:21], v[246:247]
	v_mov_b32_e32 v251, v221
	v_pk_add_f32 v[12:13], v[254:255], v[12:13]
	v_mov_b32_e32 v53, v35
	;; [unrolled: 2-line block ×4, first 2 shown]
	v_pk_add_f32 v[12:13], v[14:15], v[12:13]
	v_pk_add_f32 v[14:15], v[20:21], v[212:213]
	;; [unrolled: 1-line block ×4, first 2 shown]
	v_mov_b32_e32 v19, v29
	v_pk_add_f32 v[14:15], v[222:223], v[14:15]
	v_pk_add_f32 v[12:13], v[18:19], v[12:13]
	;; [unrolled: 1-line block ×3, first 2 shown]
	v_mov_b32_e32 v23, v27
	v_pk_add_f32 v[14:15], v[230:231], v[14:15]
	v_pk_add_f32 v[12:13], v[22:23], v[12:13]
	;; [unrolled: 1-line block ×3, first 2 shown]
	v_mov_b32_e32 v151, v149
	v_pk_add_f32 v[14:15], v[238:239], v[14:15]
	v_mov_b32_e32 v187, v185
	v_pk_add_f32 v[14:15], v[242:243], v[14:15]
	ds_write2_b64 v253, v[12:13], v[14:15] offset0:10 offset1:11
	v_pk_add_f32 v[12:13], v[20:21], v[178:179]
	v_pk_add_f32 v[14:15], v[20:21], v[146:147]
	;; [unrolled: 1-line block ×4, first 2 shown]
	v_mov_b32_e32 v155, v153
	v_pk_add_f32 v[12:13], v[186:187], v[12:13]
	v_mov_b32_e32 v191, v189
	v_pk_add_f32 v[14:15], v[154:155], v[14:15]
	;; [unrolled: 2-line block ×11, first 2 shown]
	v_pk_add_f32 v[14:15], v[174:175], v[14:15]
	v_mov_b32_e32 v83, v81
	v_mov_b32_e32 v49, v41
	ds_write2_b64 v253, v[12:13], v[14:15] offset0:12 offset1:13
	v_pk_add_f32 v[12:13], v[20:21], v[82:83]
	v_mov_b32_e32 v87, v85
	v_pk_add_f32 v[14:15], v[20:21], v[48:49]
	v_mov_b32_e32 v55, v45
	;; [unrolled: 2-line block ×14, first 2 shown]
	v_pk_add_f32 v[12:13], v[132:133], v[12:13]
	v_pk_add_f32 v[14:15], v[78:79], v[14:15]
	v_accvgpr_read_b32 v241, a1
	ds_write2_b64 v253, v[12:13], v[14:15] offset0:14 offset1:15
	v_pk_add_f32 v[12:13], v[20:21], v[240:241]
	v_accvgpr_read_b32 v237, a3
	v_pk_add_f32 v[12:13], v[236:237], v[12:13]
	v_accvgpr_read_b32 v233, a5
	;; [unrolled: 2-line block ×4, first 2 shown]
	v_mov_b32_e32 v221, v37
	v_pk_add_f32 v[12:13], v[224:225], v[12:13]
	v_accvgpr_read_b32 v37, a11
	v_pk_add_f32 v[12:13], v[36:37], v[12:13]
	v_accvgpr_read_b32 v41, a13
	;; [unrolled: 2-line block ×3, first 2 shown]
	v_pk_add_f32 v[12:13], v[44:45], v[12:13]
	ds_write_b64 v253, v[12:13] offset:128
.LBB0_13:
	s_or_b64 exec, exec, s[4:5]
	s_waitcnt lgkmcnt(0)
	s_barrier
	ds_read2_b64 v[12:15], v209 offset0:34 offset1:51
	ds_read2_b64 v[16:19], v209 offset1:17
	ds_read2_b64 v[20:23], v209 offset0:68 offset1:85
	ds_read_b64 v[24:25], v209 offset:816
	v_mov_b32_e32 v28, v9
	s_waitcnt lgkmcnt(3)
	v_pk_mul_f32 v[30:31], v[8:9], v[14:15] op_sel:[0,1] op_sel_hi:[1,0]
	v_pk_mul_f32 v[26:27], v[8:9], v[14:15]
	v_mov_b32_e32 v30, v31
	s_waitcnt lgkmcnt(1)
	v_pk_mul_f32 v[32:33], v[10:11], v[20:21] op_sel:[0,1] op_sel_hi:[1,0]
	v_pk_fma_f32 v[8:9], v[8:9], v[14:15], v[30:31] op_sel:[0,1,0] op_sel_hi:[1,0,1] neg_lo:[0,0,1] neg_hi:[0,0,1]
	v_mov_b32_e32 v30, v11
	v_mov_b32_e32 v32, v33
	v_pk_mul_f32 v[28:29], v[28:29], v[14:15] op_sel:[0,1] op_sel_hi:[1,0]
	v_pk_mul_f32 v[14:15], v[10:11], v[20:21]
	v_pk_mul_f32 v[30:31], v[30:31], v[20:21] op_sel:[0,1] op_sel_hi:[1,0]
	v_pk_fma_f32 v[10:11], v[10:11], v[20:21], v[32:33] op_sel:[0,1,0] op_sel_hi:[1,0,1] neg_lo:[0,0,1] neg_hi:[0,0,1]
	v_mov_b32_e32 v20, v19
	v_pk_mul_f32 v[32:33], v[4:5], v[18:19] op_sel_hi:[1,0]
	s_mov_b32 s4, 0x3f08b237
	v_pk_fma_f32 v[20:21], v[4:5], v[20:21], v[32:33] op_sel:[0,0,1] op_sel_hi:[1,1,0] neg_lo:[0,0,1] neg_hi:[0,0,1]
	v_pk_fma_f32 v[4:5], v[4:5], v[18:19], v[32:33] op_sel:[0,1,1] op_sel_hi:[1,1,0]
	v_pk_mul_f32 v[18:19], v[6:7], v[12:13] op_sel_hi:[1,0]
	v_mov_b32_e32 v4, v13
	v_mov_b32_e32 v21, v5
	v_pk_fma_f32 v[4:5], v[6:7], v[4:5], v[18:19] op_sel:[0,0,1] op_sel_hi:[1,1,0] neg_lo:[0,0,1] neg_hi:[0,0,1]
	v_pk_fma_f32 v[6:7], v[6:7], v[12:13], v[18:19] op_sel:[0,1,1] op_sel_hi:[1,1,0]
	v_pk_mul_f32 v[12:13], v[0:1], v[22:23] op_sel_hi:[1,0]
	v_mov_b32_e32 v6, v23
	v_mov_b32_e32 v5, v7
	v_pk_fma_f32 v[6:7], v[0:1], v[6:7], v[12:13] op_sel:[0,0,1] op_sel_hi:[1,1,0] neg_lo:[0,0,1] neg_hi:[0,0,1]
	v_pk_fma_f32 v[0:1], v[0:1], v[22:23], v[12:13] op_sel:[0,1,1] op_sel_hi:[1,1,0]
	s_waitcnt lgkmcnt(0)
	v_pk_mul_f32 v[12:13], v[2:3], v[24:25] op_sel_hi:[1,0]
	v_mov_b32_e32 v0, v25
	v_mov_b32_e32 v7, v1
	v_pk_fma_f32 v[0:1], v[2:3], v[0:1], v[12:13] op_sel:[0,0,1] op_sel_hi:[1,1,0] neg_lo:[0,0,1] neg_hi:[0,0,1]
	v_pk_fma_f32 v[2:3], v[2:3], v[24:25], v[12:13] op_sel:[0,1,1] op_sel_hi:[1,1,0]
	v_mov_b32_e32 v15, v20
	v_mov_b32_e32 v1, v3
	;; [unrolled: 1-line block ×5, first 2 shown]
	v_pk_add_f32 v[2:3], v[20:21], v[0:1]
	v_pk_add_f32 v[12:13], v[20:21], v[0:1] neg_lo:[0,1] neg_hi:[0,1]
	v_pk_add_f32 v[18:19], v[4:5], v[6:7]
	v_pk_add_f32 v[22:23], v[4:5], v[6:7] neg_lo:[0,1] neg_hi:[0,1]
	v_pk_add_f32 v[0:1], v[14:15], v[30:31]
	v_pk_add_f32 v[4:5], v[26:27], v[28:29]
	v_mov_b32_e32 v11, v0
	v_mov_b32_e32 v9, v4
	v_pk_add_f32 v[6:7], v[10:11], v[8:9] neg_lo:[0,1] neg_hi:[0,1]
	v_mov_b32_e32 v26, v19
	v_mov_b32_e32 v27, v8
	;; [unrolled: 1-line block ×4, first 2 shown]
	v_pk_add_f32 v[8:9], v[26:27], v[8:9]
	v_pk_add_f32 v[10:11], v[4:5], v[0:1]
	v_mov_b32_e32 v14, v6
	v_mov_b32_e32 v15, v13
	;; [unrolled: 1-line block ×6, first 2 shown]
	s_mov_b32 s14, 0x3d64c772
	v_pk_add_f32 v[14:15], v[14:15], v[20:21] neg_lo:[0,1] neg_hi:[0,1]
	s_mov_b32 s5, 0xbeae86e6
	v_mov_b32_e32 v20, v12
	v_mov_b32_e32 v24, v6
	;; [unrolled: 1-line block ×3, first 2 shown]
	v_pk_add_f32 v[26:27], v[0:1], v[26:27] neg_lo:[0,1] neg_hi:[0,1]
	v_mov_b32_e32 v28, v3
	v_mov_b32_e32 v29, v9
	v_mov_b32_e32 v4, v10
	v_pk_add_f32 v[8:9], v[8:9], v[10:11]
	s_mov_b32 s15, 0x3f4a47b2
	v_pk_mul_f32 v[14:15], v[14:15], s[4:5]
	v_pk_add_f32 v[20:21], v[20:21], v[24:25] neg_lo:[0,1] neg_hi:[0,1]
	s_mov_b32 s6, s5
	s_mov_b32 s7, s4
	v_pk_add_f32 v[6:7], v[6:7], v[22:23]
	v_pk_add_f32 v[28:29], v[28:29], v[4:5] neg_lo:[0,1] neg_hi:[0,1]
	v_pk_add_f32 v[10:11], v[16:17], v[8:9]
	s_mov_b32 s10, 0xbf955555
	v_pk_mul_f32 v[16:17], v[26:27], s[14:15]
	s_mov_b32 s16, s15
	s_mov_b32 s17, s14
	v_pk_mul_f32 v[24:25], v[20:21], s[6:7]
	v_pk_add_f32 v[6:7], v[6:7], v[12:13]
	s_mov_b32 s4, 0xbee1c552
	v_pk_mul_f32 v[26:27], v[28:29], s[16:17]
	v_pk_fma_f32 v[8:9], v[8:9], s[10:11], v[10:11] op_sel_hi:[1,0,1]
	v_pk_fma_f32 v[28:29], v[28:29], s[16:17], v[16:17]
	v_pk_fma_f32 v[20:21], v[20:21], s[6:7], v[14:15]
	v_pk_add_f32 v[28:29], v[28:29], v[8:9]
	v_pk_fma_f32 v[20:21], v[6:7], s[4:5], v[20:21] op_sel_hi:[1,0,1]
	v_mov_b32_e32 v4, v19
	v_pk_add_f32 v[30:31], v[28:29], v[20:21]
	v_pk_add_f32 v[20:21], v[28:29], v[20:21] neg_lo:[0,1] neg_hi:[0,1]
	v_mov_b32_e32 v28, v30
	v_mov_b32_e32 v29, v21
	;; [unrolled: 1-line block ×3, first 2 shown]
	ds_write2_b64 v208, v[10:11], v[28:29] offset1:17
	v_pk_add_f32 v[10:11], v[22:23], v[12:13] neg_lo:[0,1] neg_hi:[0,1]
	s_mov_b32 s6, 0xbf5ff5aa
	v_pk_add_f32 v[0:1], v[4:5], v[0:1] neg_lo:[0,1] neg_hi:[0,1]
	s_mov_b32 s10, 0x3f3bfb3b
	v_mov_b32_e32 v2, v26
	v_mov_b32_e32 v3, v17
	;; [unrolled: 1-line block ×6, first 2 shown]
	v_pk_fma_f32 v[2:3], v[0:1], s[10:11], v[2:3] op_sel_hi:[1,0,1] neg_lo:[1,0,1] neg_hi:[1,0,1]
	v_pk_fma_f32 v[4:5], v[10:11], s[6:7], v[4:5] op_sel_hi:[1,0,1] neg_lo:[1,0,1] neg_hi:[1,0,1]
	;; [unrolled: 1-line block ×4, first 2 shown]
	v_pk_add_f32 v[2:3], v[2:3], v[8:9]
	v_pk_fma_f32 v[4:5], v[6:7], s[4:5], v[4:5] op_sel_hi:[1,0,1]
	v_pk_add_f32 v[0:1], v[0:1], v[8:9]
	v_pk_fma_f32 v[6:7], v[6:7], s[4:5], v[10:11] op_sel_hi:[1,0,1]
	v_pk_add_f32 v[12:13], v[2:3], v[4:5]
	v_pk_add_f32 v[2:3], v[2:3], v[4:5] neg_lo:[0,1] neg_hi:[0,1]
	v_pk_add_f32 v[8:9], v[0:1], v[6:7] neg_lo:[0,1] neg_hi:[0,1]
	v_pk_add_f32 v[0:1], v[0:1], v[6:7]
	v_mov_b32_e32 v4, v12
	v_mov_b32_e32 v5, v3
	;; [unrolled: 1-line block ×7, first 2 shown]
	s_and_b64 s[4:5], exec, vcc
	v_accvgpr_read_b32 v14, a0
	ds_write2_b64 v208, v[4:5], v[6:7] offset0:34 offset1:51
	ds_write2_b64 v208, v[0:1], v[2:3] offset0:68 offset1:85
	ds_write_b64 v208, v[20:21] offset:816
	s_waitcnt lgkmcnt(0)
	s_barrier
	s_mov_b64 exec, s[4:5]
	s_cbranch_execz .LBB0_15
; %bb.14:
	global_load_dwordx2 v[2:3], v252, s[8:9]
	ds_read_b64 v[6:7], v208
	v_mad_u64_u32 v[4:5], s[4:5], s2, v14, 0
	v_mov_b32_e32 v10, v5
	v_mad_u64_u32 v[10:11], s[2:3], s3, v14, v[10:11]
	v_mov_b32_e32 v0, s12
	v_mov_b32_e32 v1, s13
	;; [unrolled: 1-line block ×3, first 2 shown]
	v_mad_u64_u32 v[8:9], s[6:7], s0, v220, 0
	v_lshl_add_u64 v[0:1], v[4:5], 3, v[0:1]
	s_mov_b32 s4, 0x1135c811
	v_mov_b32_e32 v12, v9
	s_mov_b32 s5, 0x3f8135c8
	v_mad_u64_u32 v[12:13], s[2:3], s1, v220, v[12:13]
	v_mov_b32_e32 v9, v12
	v_lshl_add_u64 v[8:9], v[8:9], 3, v[0:1]
	s_mul_i32 s2, s1, 56
	s_mul_i32 s3, s1, 0x70
	s_waitcnt vmcnt(0) lgkmcnt(0)
	v_mul_f32_e32 v4, v7, v3
	v_mul_f32_e32 v3, v6, v3
	v_fmac_f32_e32 v4, v6, v2
	v_fma_f32 v5, v2, v7, -v3
	v_cvt_f64_f32_e32 v[2:3], v4
	v_cvt_f64_f32_e32 v[4:5], v5
	v_mul_f64 v[2:3], v[2:3], s[4:5]
	v_mul_f64 v[4:5], v[4:5], s[4:5]
	v_cvt_f32_f64_e32 v2, v[2:3]
	v_cvt_f32_f64_e32 v3, v[4:5]
	global_store_dwordx2 v[8:9], v[2:3], off
	global_load_dwordx2 v[6:7], v252, s[8:9] offset:56
	ds_read2_b64 v[2:5], v208 offset0:7 offset1:14
	v_mad_u64_u32 v[8:9], s[6:7], s0, 56, v[8:9]
	v_add_u32_e32 v9, s2, v9
	s_waitcnt vmcnt(0) lgkmcnt(0)
	v_mul_f32_e32 v10, v3, v7
	v_mul_f32_e32 v7, v2, v7
	v_fmac_f32_e32 v10, v2, v6
	v_fma_f32 v6, v6, v3, -v7
	v_cvt_f64_f32_e32 v[2:3], v10
	v_cvt_f64_f32_e32 v[6:7], v6
	v_mul_f64 v[2:3], v[2:3], s[4:5]
	v_mul_f64 v[6:7], v[6:7], s[4:5]
	v_cvt_f32_f64_e32 v2, v[2:3]
	v_cvt_f32_f64_e32 v3, v[6:7]
	global_store_dwordx2 v[8:9], v[2:3], off
	global_load_dwordx2 v[2:3], v252, s[8:9] offset:112
	v_mad_u64_u32 v[6:7], s[6:7], s0, 56, v[8:9]
	v_add_u32_e32 v7, s2, v7
	s_waitcnt vmcnt(0)
	v_mul_f32_e32 v8, v5, v3
	v_mul_f32_e32 v3, v4, v3
	v_fmac_f32_e32 v8, v4, v2
	v_fma_f32 v4, v2, v5, -v3
	v_cvt_f64_f32_e32 v[2:3], v8
	v_cvt_f64_f32_e32 v[4:5], v4
	v_mul_f64 v[2:3], v[2:3], s[4:5]
	v_mul_f64 v[4:5], v[4:5], s[4:5]
	v_cvt_f32_f64_e32 v2, v[2:3]
	v_cvt_f32_f64_e32 v3, v[4:5]
	global_store_dwordx2 v[6:7], v[2:3], off
	global_load_dwordx2 v[8:9], v252, s[8:9] offset:168
	ds_read2_b64 v[2:5], v208 offset0:21 offset1:28
	v_mad_u64_u32 v[6:7], s[6:7], s0, 56, v[6:7]
	v_add_u32_e32 v7, s2, v7
	s_waitcnt vmcnt(0) lgkmcnt(0)
	v_mul_f32_e32 v10, v3, v9
	v_mul_f32_e32 v9, v2, v9
	v_fmac_f32_e32 v10, v2, v8
	v_fma_f32 v8, v8, v3, -v9
	v_cvt_f64_f32_e32 v[2:3], v10
	v_cvt_f64_f32_e32 v[8:9], v8
	v_mul_f64 v[2:3], v[2:3], s[4:5]
	v_mul_f64 v[8:9], v[8:9], s[4:5]
	v_cvt_f32_f64_e32 v2, v[2:3]
	v_cvt_f32_f64_e32 v3, v[8:9]
	global_store_dwordx2 v[6:7], v[2:3], off
	global_load_dwordx2 v[2:3], v252, s[8:9] offset:224
	v_mad_u64_u32 v[6:7], s[6:7], s0, 56, v[6:7]
	v_add_u32_e32 v7, s2, v7
	s_waitcnt vmcnt(0)
	;; [unrolled: 31-line block ×3, first 2 shown]
	v_mul_f32_e32 v8, v5, v3
	v_mul_f32_e32 v3, v4, v3
	v_fmac_f32_e32 v8, v4, v2
	v_fma_f32 v4, v2, v5, -v3
	v_cvt_f64_f32_e32 v[2:3], v8
	v_cvt_f64_f32_e32 v[4:5], v4
	v_mul_f64 v[2:3], v[2:3], s[4:5]
	v_mul_f64 v[4:5], v[4:5], s[4:5]
	v_cvt_f32_f64_e32 v2, v[2:3]
	v_cvt_f32_f64_e32 v3, v[4:5]
	global_store_dwordx2 v[6:7], v[2:3], off
	global_load_dwordx2 v[8:9], v252, s[8:9] offset:392
	ds_read2_b64 v[2:5], v208 offset0:49 offset1:56
	v_mad_u64_u32 v[6:7], s[6:7], s0, 56, v[6:7]
	v_add_u32_e32 v7, s2, v7
	s_waitcnt vmcnt(0) lgkmcnt(0)
	v_mul_f32_e32 v10, v3, v9
	v_mul_f32_e32 v9, v2, v9
	v_fmac_f32_e32 v10, v2, v8
	v_fma_f32 v8, v8, v3, -v9
	v_cvt_f64_f32_e32 v[2:3], v10
	v_cvt_f64_f32_e32 v[8:9], v8
	v_mul_f64 v[2:3], v[2:3], s[4:5]
	v_mul_f64 v[8:9], v[8:9], s[4:5]
	v_cvt_f32_f64_e32 v2, v[2:3]
	v_cvt_f32_f64_e32 v3, v[8:9]
	global_store_dwordx2 v[6:7], v[2:3], off
	global_load_dwordx2 v[2:3], v252, s[8:9] offset:448
	v_mad_u64_u32 v[8:9], s[6:7], s0, v221, 0
	v_mov_b32_e32 v10, v9
	v_mad_u64_u32 v[10:11], s[6:7], s1, v221, v[10:11]
	v_mov_b32_e32 v9, v10
	v_lshl_add_u64 v[8:9], v[8:9], 3, v[0:1]
	s_waitcnt vmcnt(0)
	v_mul_f32_e32 v10, v5, v3
	v_mul_f32_e32 v3, v4, v3
	v_fmac_f32_e32 v10, v4, v2
	v_fma_f32 v4, v2, v5, -v3
	v_cvt_f64_f32_e32 v[2:3], v10
	v_cvt_f64_f32_e32 v[4:5], v4
	v_mul_f64 v[2:3], v[2:3], s[4:5]
	v_mul_f64 v[4:5], v[4:5], s[4:5]
	v_cvt_f32_f64_e32 v2, v[2:3]
	v_cvt_f32_f64_e32 v3, v[4:5]
	global_store_dwordx2 v[8:9], v[2:3], off
	global_load_dwordx2 v[8:9], v252, s[8:9] offset:504
	ds_read2_b64 v[2:5], v208 offset0:63 offset1:70
	v_mov_b32_e32 v10, 0x70
	v_mad_u64_u32 v[6:7], s[6:7], s0, v10, v[6:7]
	v_add_u32_e32 v7, s3, v7
	s_waitcnt vmcnt(0) lgkmcnt(0)
	v_mul_f32_e32 v10, v3, v9
	v_mul_f32_e32 v9, v2, v9
	v_fmac_f32_e32 v10, v2, v8
	v_fma_f32 v8, v8, v3, -v9
	v_cvt_f64_f32_e32 v[2:3], v10
	v_cvt_f64_f32_e32 v[8:9], v8
	v_mul_f64 v[2:3], v[2:3], s[4:5]
	v_mul_f64 v[8:9], v[8:9], s[4:5]
	v_cvt_f32_f64_e32 v2, v[2:3]
	v_cvt_f32_f64_e32 v3, v[8:9]
	global_store_dwordx2 v[6:7], v[2:3], off
	global_load_dwordx2 v[2:3], v252, s[8:9] offset:560
	v_mad_u64_u32 v[6:7], s[6:7], s0, 56, v[6:7]
	v_add_u32_e32 v7, s2, v7
	s_waitcnt vmcnt(0)
	v_mul_f32_e32 v8, v5, v3
	v_mul_f32_e32 v3, v4, v3
	v_fmac_f32_e32 v8, v4, v2
	v_fma_f32 v4, v2, v5, -v3
	v_cvt_f64_f32_e32 v[2:3], v8
	v_cvt_f64_f32_e32 v[4:5], v4
	v_mul_f64 v[2:3], v[2:3], s[4:5]
	v_mul_f64 v[4:5], v[4:5], s[4:5]
	v_cvt_f32_f64_e32 v2, v[2:3]
	v_cvt_f32_f64_e32 v3, v[4:5]
	global_store_dwordx2 v[6:7], v[2:3], off
	global_load_dwordx2 v[8:9], v252, s[8:9] offset:616
	ds_read2_b64 v[2:5], v208 offset0:77 offset1:84
	v_mad_u64_u32 v[6:7], s[6:7], s0, 56, v[6:7]
	v_add_u32_e32 v7, s2, v7
	s_waitcnt vmcnt(0) lgkmcnt(0)
	v_mul_f32_e32 v10, v3, v9
	v_mul_f32_e32 v9, v2, v9
	v_fmac_f32_e32 v10, v2, v8
	v_fma_f32 v8, v8, v3, -v9
	v_cvt_f64_f32_e32 v[2:3], v10
	v_cvt_f64_f32_e32 v[8:9], v8
	v_mul_f64 v[2:3], v[2:3], s[4:5]
	v_mul_f64 v[8:9], v[8:9], s[4:5]
	v_cvt_f32_f64_e32 v2, v[2:3]
	v_cvt_f32_f64_e32 v3, v[8:9]
	global_store_dwordx2 v[6:7], v[2:3], off
	global_load_dwordx2 v[2:3], v252, s[8:9] offset:672
	v_mad_u64_u32 v[6:7], s[6:7], s0, 56, v[6:7]
	v_add_u32_e32 v7, s2, v7
	s_waitcnt vmcnt(0)
	v_mul_f32_e32 v8, v5, v3
	v_mul_f32_e32 v3, v4, v3
	v_fmac_f32_e32 v8, v4, v2
	v_fma_f32 v4, v2, v5, -v3
	v_cvt_f64_f32_e32 v[2:3], v8
	v_cvt_f64_f32_e32 v[4:5], v4
	v_mul_f64 v[2:3], v[2:3], s[4:5]
	v_mul_f64 v[4:5], v[4:5], s[4:5]
	v_cvt_f32_f64_e32 v2, v[2:3]
	v_cvt_f32_f64_e32 v3, v[4:5]
	global_store_dwordx2 v[6:7], v[2:3], off
	global_load_dwordx2 v[8:9], v252, s[8:9] offset:728
	ds_read2_b64 v[2:5], v208 offset0:91 offset1:98
	;; [unrolled: 31-line block ×3, first 2 shown]
	v_mad_u64_u32 v[6:7], s[6:7], s0, 56, v[6:7]
	v_add_u32_e32 v7, s2, v7
	s_waitcnt vmcnt(0) lgkmcnt(0)
	v_mul_f32_e32 v10, v3, v9
	v_mul_f32_e32 v9, v2, v9
	v_fmac_f32_e32 v10, v2, v8
	v_fma_f32 v8, v8, v3, -v9
	v_cvt_f64_f32_e32 v[2:3], v10
	v_cvt_f64_f32_e32 v[8:9], v8
	v_mul_f64 v[2:3], v[2:3], s[4:5]
	v_mul_f64 v[8:9], v[8:9], s[4:5]
	v_cvt_f32_f64_e32 v2, v[2:3]
	v_cvt_f32_f64_e32 v3, v[8:9]
	global_store_dwordx2 v[6:7], v[2:3], off
	global_load_dwordx2 v[2:3], v252, s[8:9] offset:896
	v_or_b32_e32 v9, 0x70, v220
	v_mad_u64_u32 v[6:7], s[2:3], s0, v9, 0
	v_mov_b32_e32 v8, v7
	v_mad_u64_u32 v[8:9], s[0:1], s1, v9, v[8:9]
	v_mov_b32_e32 v7, v8
	v_lshl_add_u64 v[0:1], v[6:7], 3, v[0:1]
	s_waitcnt vmcnt(0)
	v_mul_f32_e32 v8, v5, v3
	v_mul_f32_e32 v3, v4, v3
	v_fmac_f32_e32 v8, v4, v2
	v_fma_f32 v4, v2, v5, -v3
	v_cvt_f64_f32_e32 v[2:3], v8
	v_cvt_f64_f32_e32 v[4:5], v4
	v_mul_f64 v[2:3], v[2:3], s[4:5]
	v_mul_f64 v[4:5], v[4:5], s[4:5]
	v_cvt_f32_f64_e32 v2, v[2:3]
	v_cvt_f32_f64_e32 v3, v[4:5]
	global_store_dwordx2 v[0:1], v[2:3], off
.LBB0_15:
	s_endpgm
	.section	.rodata,"a",@progbits
	.p2align	6, 0x0
	.amdhsa_kernel bluestein_single_fwd_len119_dim1_sp_op_CI_CI
		.amdhsa_group_segment_fixed_size 14280
		.amdhsa_private_segment_fixed_size 0
		.amdhsa_kernarg_size 104
		.amdhsa_user_sgpr_count 2
		.amdhsa_user_sgpr_dispatch_ptr 0
		.amdhsa_user_sgpr_queue_ptr 0
		.amdhsa_user_sgpr_kernarg_segment_ptr 1
		.amdhsa_user_sgpr_dispatch_id 0
		.amdhsa_user_sgpr_kernarg_preload_length 0
		.amdhsa_user_sgpr_kernarg_preload_offset 0
		.amdhsa_user_sgpr_private_segment_size 0
		.amdhsa_uses_dynamic_stack 0
		.amdhsa_enable_private_segment 0
		.amdhsa_system_sgpr_workgroup_id_x 1
		.amdhsa_system_sgpr_workgroup_id_y 0
		.amdhsa_system_sgpr_workgroup_id_z 0
		.amdhsa_system_sgpr_workgroup_info 0
		.amdhsa_system_vgpr_workitem_id 0
		.amdhsa_next_free_vgpr 284
		.amdhsa_next_free_sgpr 58
		.amdhsa_accum_offset 256
		.amdhsa_reserve_vcc 1
		.amdhsa_float_round_mode_32 0
		.amdhsa_float_round_mode_16_64 0
		.amdhsa_float_denorm_mode_32 3
		.amdhsa_float_denorm_mode_16_64 3
		.amdhsa_dx10_clamp 1
		.amdhsa_ieee_mode 1
		.amdhsa_fp16_overflow 0
		.amdhsa_tg_split 0
		.amdhsa_exception_fp_ieee_invalid_op 0
		.amdhsa_exception_fp_denorm_src 0
		.amdhsa_exception_fp_ieee_div_zero 0
		.amdhsa_exception_fp_ieee_overflow 0
		.amdhsa_exception_fp_ieee_underflow 0
		.amdhsa_exception_fp_ieee_inexact 0
		.amdhsa_exception_int_div_zero 0
	.end_amdhsa_kernel
	.text
.Lfunc_end0:
	.size	bluestein_single_fwd_len119_dim1_sp_op_CI_CI, .Lfunc_end0-bluestein_single_fwd_len119_dim1_sp_op_CI_CI
                                        ; -- End function
	.section	.AMDGPU.csdata,"",@progbits
; Kernel info:
; codeLenInByte = 14024
; NumSgprs: 64
; NumVgprs: 256
; NumAgprs: 28
; TotalNumVgprs: 284
; ScratchSize: 0
; MemoryBound: 0
; FloatMode: 240
; IeeeMode: 1
; LDSByteSize: 14280 bytes/workgroup (compile time only)
; SGPRBlocks: 7
; VGPRBlocks: 35
; NumSGPRsForWavesPerEU: 64
; NumVGPRsForWavesPerEU: 284
; AccumOffset: 256
; Occupancy: 1
; WaveLimiterHint : 1
; COMPUTE_PGM_RSRC2:SCRATCH_EN: 0
; COMPUTE_PGM_RSRC2:USER_SGPR: 2
; COMPUTE_PGM_RSRC2:TRAP_HANDLER: 0
; COMPUTE_PGM_RSRC2:TGID_X_EN: 1
; COMPUTE_PGM_RSRC2:TGID_Y_EN: 0
; COMPUTE_PGM_RSRC2:TGID_Z_EN: 0
; COMPUTE_PGM_RSRC2:TIDIG_COMP_CNT: 0
; COMPUTE_PGM_RSRC3_GFX90A:ACCUM_OFFSET: 63
; COMPUTE_PGM_RSRC3_GFX90A:TG_SPLIT: 0
	.text
	.p2alignl 6, 3212836864
	.fill 256, 4, 3212836864
	.type	__hip_cuid_85154d33f16e2717,@object ; @__hip_cuid_85154d33f16e2717
	.section	.bss,"aw",@nobits
	.globl	__hip_cuid_85154d33f16e2717
__hip_cuid_85154d33f16e2717:
	.byte	0                               ; 0x0
	.size	__hip_cuid_85154d33f16e2717, 1

	.ident	"AMD clang version 19.0.0git (https://github.com/RadeonOpenCompute/llvm-project roc-6.4.0 25133 c7fe45cf4b819c5991fe208aaa96edf142730f1d)"
	.section	".note.GNU-stack","",@progbits
	.addrsig
	.addrsig_sym __hip_cuid_85154d33f16e2717
	.amdgpu_metadata
---
amdhsa.kernels:
  - .agpr_count:     28
    .args:
      - .actual_access:  read_only
        .address_space:  global
        .offset:         0
        .size:           8
        .value_kind:     global_buffer
      - .actual_access:  read_only
        .address_space:  global
        .offset:         8
        .size:           8
        .value_kind:     global_buffer
      - .actual_access:  read_only
        .address_space:  global
        .offset:         16
        .size:           8
        .value_kind:     global_buffer
      - .actual_access:  read_only
        .address_space:  global
        .offset:         24
        .size:           8
        .value_kind:     global_buffer
      - .actual_access:  read_only
        .address_space:  global
        .offset:         32
        .size:           8
        .value_kind:     global_buffer
      - .offset:         40
        .size:           8
        .value_kind:     by_value
      - .address_space:  global
        .offset:         48
        .size:           8
        .value_kind:     global_buffer
      - .address_space:  global
        .offset:         56
        .size:           8
        .value_kind:     global_buffer
      - .address_space:  global
        .offset:         64
        .size:           8
        .value_kind:     global_buffer
      - .address_space:  global
        .offset:         72
        .size:           8
        .value_kind:     global_buffer
      - .offset:         80
        .size:           4
        .value_kind:     by_value
      - .address_space:  global
        .offset:         88
        .size:           8
        .value_kind:     global_buffer
      - .address_space:  global
        .offset:         96
        .size:           8
        .value_kind:     global_buffer
    .group_segment_fixed_size: 14280
    .kernarg_segment_align: 8
    .kernarg_segment_size: 104
    .language:       OpenCL C
    .language_version:
      - 2
      - 0
    .max_flat_workgroup_size: 255
    .name:           bluestein_single_fwd_len119_dim1_sp_op_CI_CI
    .private_segment_fixed_size: 0
    .sgpr_count:     64
    .sgpr_spill_count: 0
    .symbol:         bluestein_single_fwd_len119_dim1_sp_op_CI_CI.kd
    .uniform_work_group_size: 1
    .uses_dynamic_stack: false
    .vgpr_count:     284
    .vgpr_spill_count: 0
    .wavefront_size: 64
amdhsa.target:   amdgcn-amd-amdhsa--gfx950
amdhsa.version:
  - 1
  - 2
...

	.end_amdgpu_metadata
